;; amdgpu-corpus repo=ROCm/Tensile kind=harvested arch=n/a opt=n/a

/******************************************/
/* Function Prefix                        */
/******************************************/



/******************************************/
/* Begin Kernel                           */
/******************************************/

// Component.Signature.SignatureDefault
.amdgcn_target "amdgcn-amd-amdhsa--gfx908"
.text
.protected Cijk_Alik_Bljk_CB_MT128x128x8_MI32x32x2x1_SE_1LDSB0_APM1_AF0EM1_AF1EM1_AMAS0_ASE_ASAE01_ASCE01_ASEM1_BL1_DTLA0_DTLB0_DVO0_EPS1_FL0_GLVWA1_GLVWB1_GRVW1_GSU1_GSUASB_ISA908_IU1_K1_KLA_LBSPPA0_LBSPPB0_LPA2_LPB2_LDL1_LRVW1_LDW0_FMA_MDA2_MMFGLC_NTC0_NTD0_NEPBS0_NLCA1_NLCB1_ONLL1_OPLV0_PK0_PAP0_PGR1_PLR1_SIA3_SS0_SU32_SUM0_SUS256_SPO0_SRVW2_SSO0_SVW2_SNLL0_TT1_128_TLDS0_UMLDSA0_UMLDSB0_USFGROn1_VAW1_VSn1_VW1_VWB1_WSGRA1_WSGRB1_WG128_2_1_WGM8
.globl Cijk_Alik_Bljk_CB_MT128x128x8_MI32x32x2x1_SE_1LDSB0_APM1_AF0EM1_AF1EM1_AMAS0_ASE_ASAE01_ASCE01_ASEM1_BL1_DTLA0_DTLB0_DVO0_EPS1_FL0_GLVWA1_GLVWB1_GRVW1_GSU1_GSUASB_ISA908_IU1_K1_KLA_LBSPPA0_LBSPPB0_LPA2_LPB2_LDL1_LRVW1_LDW0_FMA_MDA2_MMFGLC_NTC0_NTD0_NEPBS0_NLCA1_NLCB1_ONLL1_OPLV0_PK0_PAP0_PGR1_PLR1_SIA3_SS0_SU32_SUM0_SUS256_SPO0_SRVW2_SSO0_SVW2_SNLL0_TT1_128_TLDS0_UMLDSA0_UMLDSB0_USFGROn1_VAW1_VSn1_VW1_VWB1_WSGRA1_WSGRB1_WG128_2_1_WGM8
.p2align 8
.type Cijk_Alik_Bljk_CB_MT128x128x8_MI32x32x2x1_SE_1LDSB0_APM1_AF0EM1_AF1EM1_AMAS0_ASE_ASAE01_ASCE01_ASEM1_BL1_DTLA0_DTLB0_DVO0_EPS1_FL0_GLVWA1_GLVWB1_GRVW1_GSU1_GSUASB_ISA908_IU1_K1_KLA_LBSPPA0_LBSPPB0_LPA2_LPB2_LDL1_LRVW1_LDW0_FMA_MDA2_MMFGLC_NTC0_NTD0_NEPBS0_NLCA1_NLCB1_ONLL1_OPLV0_PK0_PAP0_PGR1_PLR1_SIA3_SS0_SU32_SUM0_SUS256_SPO0_SRVW2_SSO0_SVW2_SNLL0_TT1_128_TLDS0_UMLDSA0_UMLDSB0_USFGROn1_VAW1_VSn1_VW1_VWB1_WSGRA1_WSGRB1_WG128_2_1_WGM8,@function
.section .rodata,#alloc
.p2align 6
.amdhsa_kernel Cijk_Alik_Bljk_CB_MT128x128x8_MI32x32x2x1_SE_1LDSB0_APM1_AF0EM1_AF1EM1_AMAS0_ASE_ASAE01_ASCE01_ASEM1_BL1_DTLA0_DTLB0_DVO0_EPS1_FL0_GLVWA1_GLVWB1_GRVW1_GSU1_GSUASB_ISA908_IU1_K1_KLA_LBSPPA0_LBSPPB0_LPA2_LPB2_LDL1_LRVW1_LDW0_FMA_MDA2_MMFGLC_NTC0_NTD0_NEPBS0_NLCA1_NLCB1_ONLL1_OPLV0_PK0_PAP0_PGR1_PLR1_SIA3_SS0_SU32_SUM0_SUS256_SPO0_SRVW2_SSO0_SVW2_SNLL0_TT1_128_TLDS0_UMLDSA0_UMLDSB0_USFGROn1_VAW1_VSn1_VW1_VWB1_WSGRA1_WSGRB1_WG128_2_1_WGM8
  .amdhsa_user_sgpr_kernarg_segment_ptr 1
  .amdhsa_user_sgpr_count 2
  .amdhsa_next_free_vgpr 256 // vgprs
  .amdhsa_next_free_sgpr 71 // sgprs
  .amdhsa_group_segment_fixed_size 49536 // lds bytes
  .amdhsa_private_segment_fixed_size 0
  .amdhsa_system_sgpr_workgroup_id_x 1
  .amdhsa_system_sgpr_workgroup_id_y 1
  .amdhsa_system_sgpr_workgroup_id_z 1
  .amdhsa_system_vgpr_workitem_id 0
  .amdhsa_float_denorm_mode_32 3
  .amdhsa_float_denorm_mode_16_64 3
.end_amdhsa_kernel
.text

/******************************************/
/* Optimizations and Config:              */
/******************************************/
/* ThreadTile= 16 x 4 */
/* SubGroup= 8 x 32 */
/* VectorWidthA=1 */
/* VectorWidthB=1 */
/* GlobalLoadVectorWidthA=1, GlobalLoadVectorWidthB=1 */
/* DirectToLdsA=False */
/* DirectToLdsB=False */
/* UseSgprForGRO=1 */
.amdgpu_metadata
---
amdhsa.version:
  - 1
  - 1
amdhsa.target: amdgcn-amd-amdhsa--gfx908
amdhsa.kernels:
  - .name: Cijk_Alik_Bljk_CB_MT128x128x8_MI32x32x2x1_SE_1LDSB0_APM1_AF0EM1_AF1EM1_AMAS0_ASE_ASAE01_ASCE01_ASEM1_BL1_DTLA0_DTLB0_DVO0_EPS1_FL0_GLVWA1_GLVWB1_GRVW1_GSU1_GSUASB_ISA908_IU1_K1_KLA_LBSPPA0_LBSPPB0_LPA2_LPB2_LDL1_LRVW1_LDW0_FMA_MDA2_MMFGLC_NTC0_NTD0_NEPBS0_NLCA1_NLCB1_ONLL1_OPLV0_PK0_PAP0_PGR1_PLR1_SIA3_SS0_SU32_SUM0_SUS256_SPO0_SRVW2_SSO0_SVW2_SNLL0_TT1_128_TLDS0_UMLDSA0_UMLDSB0_USFGROn1_VAW1_VSn1_VW1_VWB1_WSGRA1_WSGRB1_WG128_2_1_WGM8
    .symbol: 'Cijk_Alik_Bljk_CB_MT128x128x8_MI32x32x2x1_SE_1LDSB0_APM1_AF0EM1_AF1EM1_AMAS0_ASE_ASAE01_ASCE01_ASEM1_BL1_DTLA0_DTLB0_DVO0_EPS1_FL0_GLVWA1_GLVWB1_GRVW1_GSU1_GSUASB_ISA908_IU1_K1_KLA_LBSPPA0_LBSPPB0_LPA2_LPB2_LDL1_LRVW1_LDW0_FMA_MDA2_MMFGLC_NTC0_NTD0_NEPBS0_NLCA1_NLCB1_ONLL1_OPLV0_PK0_PAP0_PGR1_PLR1_SIA3_SS0_SU32_SUM0_SUS256_SPO0_SRVW2_SSO0_SVW2_SNLL0_TT1_128_TLDS0_UMLDSA0_UMLDSB0_USFGROn1_VAW1_VSn1_VW1_VWB1_WSGRA1_WSGRB1_WG128_2_1_WGM8.kd'
    .language:                   OpenCL C
    .language_version:
      - 2
      - 0
    .args:
      - .name:            Tensor2dSizeA
        .size:            8
        .offset:          0
        .value_kind:      by_value
        .value_type:      u64
      - .name:            Tensor2dSizeB
        .size:            8
        .offset:          8
        .value_kind:      by_value
        .value_type:      u64
      - .name:            AddressD
        .size:            8
        .offset:          16
        .value_kind:      by_value
        .value_type:      u64
      - .name:            AddressC
        .size:            8
        .offset:          24
        .value_kind:      by_value
        .value_type:      u64
      - .name:            AddressA
        .size:            8
        .offset:          32
        .value_kind:      by_value
        .value_type:      u64
      - .name:            AddressB
        .size:            8
        .offset:          40
        .value_kind:      by_value
        .value_type:      u64
      - .name:            Alpha
        .size:            8
        .offset:          48
        .value_kind:      by_value
        .value_type:      u64
      - .name:            Beta
        .size:            8
        .offset:          56
        .value_kind:      by_value
        .value_type:      u64
      - .name:            StridesD
        .size:            8
        .offset:          64
        .value_kind:      by_value
        .value_type:      u64
      - .name:            StridesC
        .size:            8
        .offset:          72
        .value_kind:      by_value
        .value_type:      u64
      - .name:            StridesA
        .size:            8
        .offset:          80
        .value_kind:      by_value
        .value_type:      u64
      - .name:            StridesB
        .size:            8
        .offset:          88
        .value_kind:      by_value
        .value_type:      u64
      - .name:            SizesFree
        .size:            12
        .offset:          96
        .value_kind:      by_value
        .value_type:      u96
      - .name:            SizesSum
        .size:            4
        .offset:          108
        .value_kind:      by_value
        .value_type:      u32
      - .name:            OrigStaggerUIter
        .size:            4
        .offset:          112
        .value_kind:      by_value
        .value_type:      u32
      - .name:            NumWorkGroups0
        .size:            4
        .offset:          116
        .value_kind:      by_value
        .value_type:      u32
      - .name:            NumWorkGroups1
        .size:            4
        .offset:          120
        .value_kind:      by_value
        .value_type:      u32
      - .name:            NumFullBlocks
        .size:            4
        .offset:          124
        .value_kind:      by_value
        .value_type:      u32
      - .name:            WgmRemainder1
        .size:            4
        .offset:          128
        .value_kind:      by_value
        .value_type:      u32
      - .name:            MagicNumberWgmRemainder1
        .size:            4
        .offset:          132
        .value_kind:      by_value
        .value_type:      u32
    .group_segment_fixed_size:   49536
    .kernarg_segment_align:      8
    .kernarg_segment_size:       136
    .max_flat_workgroup_size:    256
    .private_segment_fixed_size: 0
    .sgpr_count:                 71
    .sgpr_spill_count:           0
    .vgpr_count:                 256
    .vgpr_spill_count:           0
    .wavefront_size:             64
...
.end_amdgpu_metadata
Cijk_Alik_Bljk_CB_MT128x128x8_MI32x32x2x1_SE_1LDSB0_APM1_AF0EM1_AF1EM1_AMAS0_ASE_ASAE01_ASCE01_ASEM1_BL1_DTLA0_DTLB0_DVO0_EPS1_FL0_GLVWA1_GLVWB1_GRVW1_GSU1_GSUASB_ISA908_IU1_K1_KLA_LBSPPA0_LBSPPB0_LPA2_LPB2_LDL1_LRVW1_LDW0_FMA_MDA2_MMFGLC_NTC0_NTD0_NEPBS0_NLCA1_NLCB1_ONLL1_OPLV0_PK0_PAP0_PGR1_PLR1_SIA3_SS0_SU32_SUM0_SUS256_SPO0_SRVW2_SSO0_SVW2_SNLL0_TT1_128_TLDS0_UMLDSA0_UMLDSB0_USFGROn1_VAW1_VSn1_VW1_VWB1_WSGRA1_WSGRB1_WG128_2_1_WGM8:

/******************************************/
/* Asm syntax workarounds                 */
/******************************************/
.macro _v_add_co_u32 dst:req, cc:req, src0:req, src1:req, dpp=
   v_add_co_u32 \dst, \cc, \src0, \src1 \dpp
.endm

.macro _v_add_u32 dst:req, src0:req, src1:req, dpp=
   v_add_u32 \dst, \src0, \src1 \dpp
.endm

.macro _v_add_i32 dst:req, src0:req, src1:req, dpp=
   v_add_i32 \dst, \src0, \src1 \dpp
.endm

.macro _v_addc_co_u32 dst:req, ccOut:req, src0:req, ccIn:req, src1:req, dpp=
   v_addc_co_u32 \dst, \ccOut, \src0, \ccIn, \src1 \dpp
.endm

.macro _v_sub_co_u32 dst:req, cc:req, src0:req, src1:req, dpp=
   v_sub_co_u32 \dst, \cc, \src0, \src1 \dpp
.endm

.macro _v_sub_u32 dst:req, src0:req, src1:req, dpp=
   v_sub_u32 \dst, \src0, \src1 \dpp
.endm

.macro _v_sub_i32 dst:req, src0:req, src1:req, dpp=
   v_sub_i32 \dst, \src0, \src1 \dpp
.endm

.macro _v_add_lshl_u32 dst:req, src0:req, src1:req, shiftCnt:req
    v_add_lshl_u32 \dst, \src0, \src1, \shiftCnt
.endm

.macro _v_lshl_add_u32 dst:req, src0:req, src1:req, shiftCnt:req
    v_lshl_add_u32 \dst, \src0, \src1, \shiftCnt
.endm

.macro _v_lshl_or_b32 dst:req, src0:req, shiftCnt:req, src1:req
    v_lshl_or_b32 \dst, \src0, \shiftCnt, \src1
.endm

.macro _v_dot2acc_f32_f16 dst, src0, src1
v_dot2c_f32_f16 \dst, \src0, \src1
.endm

.macro _v_cmpx_lt_i16 dst, src0, src1=
   v_cmpx_lt_i16 \dst, \src0, \src1 
.endm

.macro _v_cmpx_lt_i32 dst, src0, src1=
   v_cmpx_lt_i32 \dst, \src0, \src1 
.endm

.macro _v_cmpx_lt_i64 dst, src0, src1=
   v_cmpx_lt_i64 \dst, \src0, \src1 
.endm

.macro _v_cmpx_lt_u16 dst, src0, src1=
   v_cmpx_lt_u16 \dst, \src0, \src1 
.endm

.macro _v_cmpx_lt_u32 dst, src0, src1=
   v_cmpx_lt_u32 \dst, \src0, \src1 
.endm

.macro _v_cmpx_lt_u64 dst, src0, src1=
   v_cmpx_lt_u64 \dst, \src0, \src1 
.endm

.macro _v_cmpx_eq_i16 dst, src0, src1=
   v_cmpx_eq_i16 \dst, \src0, \src1 
.endm

.macro _v_cmpx_eq_i32 dst, src0, src1=
   v_cmpx_eq_i32 \dst, \src0, \src1 
.endm

.macro _v_cmpx_eq_i64 dst, src0, src1=
   v_cmpx_eq_i64 \dst, \src0, \src1 
.endm

.macro _v_cmpx_eq_u16 dst, src0, src1=
   v_cmpx_eq_u16 \dst, \src0, \src1 
.endm

.macro _v_cmpx_eq_u32 dst, src0, src1=
   v_cmpx_eq_u32 \dst, \src0, \src1 
.endm

.macro _v_cmpx_eq_u64 dst, src0, src1=
   v_cmpx_eq_u64 \dst, \src0, \src1 
.endm

.macro _v_cmpx_le_i16 dst, src0, src1=
   v_cmpx_le_i16 \dst, \src0, \src1 
.endm

.macro _v_cmpx_le_i32 dst, src0, src1=
   v_cmpx_le_i32 \dst, \src0, \src1 
.endm

.macro _v_cmpx_le_i64 dst, src0, src1=
   v_cmpx_le_i64 \dst, \src0, \src1 
.endm

.macro _v_cmpx_le_u16 dst, src0, src1=
   v_cmpx_le_u16 \dst, \src0, \src1 
.endm

.macro _v_cmpx_le_u32 dst, src0, src1=
   v_cmpx_le_u32 \dst, \src0, \src1 
.endm

.macro _v_cmpx_le_u64 dst, src0, src1=
   v_cmpx_le_u64 \dst, \src0, \src1 
.endm

.macro _v_cmpx_gt_i16 dst, src0, src1=
   v_cmpx_gt_i16 \dst, \src0, \src1 
.endm

.macro _v_cmpx_gt_i32 dst, src0, src1=
   v_cmpx_gt_i32 \dst, \src0, \src1 
.endm

.macro _v_cmpx_gt_i64 dst, src0, src1=
   v_cmpx_gt_i64 \dst, \src0, \src1 
.endm

.macro _v_cmpx_gt_u16 dst, src0, src1=
   v_cmpx_gt_u16 \dst, \src0, \src1 
.endm

.macro _v_cmpx_gt_u32 dst, src0, src1=
   v_cmpx_gt_u32 \dst, \src0, \src1 
.endm

.macro _v_cmpx_gt_u64 dst, src0, src1=
   v_cmpx_gt_u64 \dst, \src0, \src1 
.endm

.macro _v_cmpx_ne_i16 dst, src0, src1=
   v_cmpx_ne_i16 \dst, \src0, \src1 
.endm

.macro _v_cmpx_ne_i32 dst, src0, src1=
   v_cmpx_ne_i32 \dst, \src0, \src1 
.endm

.macro _v_cmpx_ne_i64 dst, src0, src1=
   v_cmpx_ne_i64 \dst, \src0, \src1 
.endm

.macro _v_cmpx_ne_u16 dst, src0, src1=
   v_cmpx_ne_u16 \dst, \src0, \src1 
.endm

.macro _v_cmpx_ne_u32 dst, src0, src1=
   v_cmpx_ne_u32 \dst, \src0, \src1 
.endm

.macro _v_cmpx_ne_u64 dst, src0, src1=
   v_cmpx_ne_u64 \dst, \src0, \src1 
.endm

.macro _v_cmpx_lg_i16 dst, src0, src1=
   v_cmpx_lg_i16 \dst, \src0, \src1 
.endm

.macro _v_cmpx_lg_i32 dst, src0, src1=
   v_cmpx_lg_i32 \dst, \src0, \src1 
.endm

.macro _v_cmpx_lg_i64 dst, src0, src1=
   v_cmpx_lg_i64 \dst, \src0, \src1 
.endm

.macro _v_cmpx_lg_u16 dst, src0, src1=
   v_cmpx_lg_u16 \dst, \src0, \src1 
.endm

.macro _v_cmpx_lg_u32 dst, src0, src1=
   v_cmpx_lg_u32 \dst, \src0, \src1 
.endm

.macro _v_cmpx_lg_u64 dst, src0, src1=
   v_cmpx_lg_u64 \dst, \src0, \src1 
.endm

.macro _v_cmpx_ge_i16 dst, src0, src1=
   v_cmpx_ge_i16 \dst, \src0, \src1 
.endm

.macro _v_cmpx_ge_i32 dst, src0, src1=
   v_cmpx_ge_i32 \dst, \src0, \src1 
.endm

.macro _v_cmpx_ge_i64 dst, src0, src1=
   v_cmpx_ge_i64 \dst, \src0, \src1 
.endm

.macro _v_cmpx_ge_u16 dst, src0, src1=
   v_cmpx_ge_u16 \dst, \src0, \src1 
.endm

.macro _v_cmpx_ge_u32 dst, src0, src1=
   v_cmpx_ge_u32 \dst, \src0, \src1 
.endm

.macro _v_cmpx_ge_u64 dst, src0, src1=
   v_cmpx_ge_u64 \dst, \src0, \src1 
.endm

.macro _v_cmpx_o_i16 dst, src0, src1=
   v_cmpx_o_i16 \dst, \src0, \src1 
.endm

.macro _v_cmpx_o_i32 dst, src0, src1=
   v_cmpx_o_i32 \dst, \src0, \src1 
.endm

.macro _v_cmpx_o_i64 dst, src0, src1=
   v_cmpx_o_i64 \dst, \src0, \src1 
.endm

.macro _v_cmpx_o_u16 dst, src0, src1=
   v_cmpx_o_u16 \dst, \src0, \src1 
.endm

.macro _v_cmpx_o_u32 dst, src0, src1=
   v_cmpx_o_u32 \dst, \src0, \src1 
.endm

.macro _v_cmpx_o_u64 dst, src0, src1=
   v_cmpx_o_u64 \dst, \src0, \src1 
.endm

.macro _v_cmpx_u_i16 dst, src0, src1=
   v_cmpx_u_i16 \dst, \src0, \src1 
.endm

.macro _v_cmpx_u_i32 dst, src0, src1=
   v_cmpx_u_i32 \dst, \src0, \src1 
.endm

.macro _v_cmpx_u_i64 dst, src0, src1=
   v_cmpx_u_i64 \dst, \src0, \src1 
.endm

.macro _v_cmpx_u_u16 dst, src0, src1=
   v_cmpx_u_u16 \dst, \src0, \src1 
.endm

.macro _v_cmpx_u_u32 dst, src0, src1=
   v_cmpx_u_u32 \dst, \src0, \src1 
.endm

.macro _v_cmpx_u_u64 dst, src0, src1=
   v_cmpx_u_u64 \dst, \src0, \src1 
.endm
.macro _v_mac_f32 c:req, a:req, b:req
    v_fmac_f32 \c, \a, \b
.endmacro

/* scale global load macros */
.macro _s_load_b32 dst base offset
    s_load_dword \dst \base \offset
.endm

.macro _s_load_b64 dst base offset
    s_load_dwordx2 \dst \base \offset
.endm

.macro _s_load_b128 dst base offset
    s_load_dwordx4 \dst \base \offset
.endm

.macro _s_load_b256 dst base offset
    s_load_dwordx8 \dst \base \offset
.endm

.macro _s_load_b512 dst base offset
    s_load_dwordx16 \dst \base \offset
.endm


/* ds operation macros */
.macro _ds_load_u8 dst src offset
    ds_read_u8 \dst \src \offset
.endm

.macro _ds_load_u8_d16_hi dst src offset
    ds_read_u8_d16_hi \dst \src \offset
.endm

.macro _ds_load_u16 dst src offset
    ds_read_u16 \dst \src \offset
.endm

.macro _ds_load_u16_d16_hi dst src offset
    ds_read_u16_d16_hi \dst \src \offset
.endm

.macro _ds_load_b32 dst src offset
    ds_read_b32 \dst \src \offset
.endm

.macro _ds_load_b64 dst src offset
    ds_read_b64 \dst \src \offset
.endm

.macro _ds_load_b128 dst src offset
    ds_read_b128 \dst \src \offset
.endm

.macro _ds_store_b8 dst src offset
    ds_write_b8 \dst \src \offset
.endm

.macro _ds_store_b8_d16_hi dst src offset
    ds_write_b8_d16_hi \dst \src \offset
.endm

.macro _ds_store_b16 dst src offset
    ds_write_b16 \dst \src \offset
.endm

.macro _ds_store_b16_d16_hi dst src offset
    ds_write_b16_d16_hi \dst \src \offset
.endm

.macro _ds_store_b32 dst src offset
    ds_write_b32 \dst \src \offset
.endm

.macro _ds_store_b64 dst src offset
    ds_write_b64 \dst \src \offset
.endm

.macro _ds_store_b128 dst src offset
    ds_write_b128 \dst \src \offset
.endm

.macro _ds_load2_b32 dst src offset1 offset2
    ds_read2_b32 \dst \src \offset1 \offset2
.endm

.macro _ds_load2_b64 dst src offset1 offset2
    ds_read2_b64 \dst \src \offset1 \offset2
.endm

.macro _ds_store2_b32 dst src offset1 offset2
    ds_write2_b32 \dst \src \offset1 \offset2
.endm

.macro _ds_store2_b64 dst src offset1 offset2
    ds_write2_b64 \dst \src \offset1 \offset2
.endm


/* buffer memory operation macros */
.macro _buffer_load_b32 dst voffset base soffset offen ioffset md0 md1 md2
    buffer_load_dword \dst \voffset \base \soffset \offen \ioffset \md0 \md1 \md2
.endm

.macro _buffer_load_b64 dst voffset base soffset offen ioffset md0 md1 md2
    buffer_load_dwordx2 \dst \voffset \base \soffset \offen \ioffset \md0 \md1 \md2
.endm

.macro _buffer_load_b96 dst voffset base soffset offen ioffset md0 md1 md2
    buffer_load_dwordx3 \dst \voffset \base \soffset \offen \ioffset \md0 \md1 \md2
.endm

.macro _buffer_load_b128 dst voffset base soffset offen ioffset md0 md1 md2
    buffer_load_dwordx4 \dst \voffset \base \soffset \offen \ioffset \md0 \md1 \md2
.endm

.macro _buffer_load_d16_b16 dst voffset base soffset offen ioffset md0 md1 md2
    buffer_load_short_d16 \dst \voffset \base \soffset \offen \ioffset \md0 \md1 \md2
.endm

.macro _buffer_load_d16_hi_b16 dst voffset base soffset offen ioffset md0 md1 md2
    buffer_load_short_d16_hi \dst \voffset \base \soffset \offen \ioffset \md0 \md1 \md2
.endm

.macro _buffer_load_d16_u8 dst voffset base soffset offen ioffset md0 md1 md2
    buffer_load_ubyte_d16 \dst \voffset \base \soffset \offen \ioffset \md0 \md1 \md2
.endm

.macro _buffer_load_d16_hi_u8 dst voffset base soffset offen ioffset md0 md1 md2
    buffer_load_ubyte_d16_hi \dst \voffset \base \soffset \offen \ioffset \md0 \md1 \md2
.endm

.macro _buffer_load_u16 dst voffset base soffset offen ioffset md0 md1 md2
    buffer_load_ushort \dst \voffset \base \soffset \offen \ioffset \md0 \md1 \md2
.endm

.macro _buffer_load_b32_dtl voffset base soffset offen ioffset md0 md1 md2
    buffer_load_dword \voffset \base \soffset \offen \ioffset \md0 \md1 \md2
.endm

.macro _buffer_load_b64_dtl voffset base soffset offen ioffset md0 md1 md2
    buffer_load_dwordx2 \voffset \base \soffset \offen \ioffset \md0 \md1 \md2
.endm

.macro _buffer_load_b128_dtl voffset base soffset offen ioffset md0 md1 md2
    buffer_load_dwordx4 \voffset \base \soffset \offen \ioffset \md0 \md1 \md2
.endm

.macro _buffer_load_u16_dtl voffset base soffset offen ioffset md0 md1 md2
    buffer_load_ushort \voffset \base \soffset \offen \ioffset \md0 \md1 \md2
.endm

.macro _buffer_store_b32 src voffset base soffset offen ioffset md0 md1 md2
    buffer_store_dword \src \voffset \base \soffset \offen \ioffset \md0 \md1 \md2
.endm

.macro _buffer_store_b64 src voffset base soffset offen ioffset md0 md1 md2
    buffer_store_dwordx2 \src \voffset \base \soffset \offen \ioffset \md0 \md1 \md2
.endm

.macro _buffer_store_b96 src voffset base soffset offen ioffset md0 md1 md2
    buffer_store_dwordx3 \src \voffset \base \soffset \offen \ioffset \md0 \md1 \md2
.endm

.macro _buffer_store_b128 src voffset base soffset offen ioffset md0 md1 md2
    buffer_store_dwordx4 \src \voffset \base \soffset \offen \ioffset \md0 \md1 \md2
.endm

.macro _buffer_store_b16 src voffset base soffset offen ioffset md0 md1 md2
    buffer_store_short \src \voffset \base \soffset \offen \ioffset \md0 \md1 \md2
.endm

.macro _buffer_store_d16_hi_b16 src voffset base soffset offen ioffset md0 md1 md2
    buffer_store_short_d16_hi \src \voffset \base \soffset \offen \ioffset \md0 \md1 \md2
.endm

.macro _buffer_store_b8 src voffset base soffset offen ioffset md0 md1 md2
    buffer_store_byte \src \voffset \base \soffset \offen \ioffset \md0 \md1 \md2
.endm

.macro _buffer_store_d16_hi_b8 src voffset base soffset offen ioffset md0 md1 md2
    buffer_store_byte_d16_hi \src \voffset \base \soffset \offen \ioffset \md0 \md1 \md2
.endm

.macro _buffer_atomic_cmpswap_b32 dst voffset base soffset offen ioffset md0 md1 md2
    buffer_atomic_cmpswap \dst \voffset \base \soffset \offen \ioffset \md0 \md1 \md2
.endm

.macro _buffer_atomic_cmpswap_b64 dst voffset base soffset offen ioffset md0 md1 md2
    buffer_atomic_cmpswap_x2 \dst \voffset \base \soffset \offen \ioffset \md0 \md1 \md2
.endm


/* buffer memory operation macros */
.macro _global_load_b32 dst base src ioffset md0 md1 md2
    global_load_dword \dst \base \src \ioffset \md0 \md1 \md2
.endm

.macro _global_load_b64 dst base src ioffset md0 md1 md2
    global_load_dwordx2 \dst \base \src \ioffset \md0 \md1 \md2
.endm

.macro _global_load_b96 dst base src ioffset md0 md1 md2
    global_load_dwordx3 \dst \base \src \ioffset \md0 \md1 \md2
.endm

.macro _global_load_b128 dst base src ioffset md0 md1 md2
    global_load_dwordx4 \dst \base \src \ioffset \md0 \md1 \md2
.endm

.macro _global_load_d16_b16 dst base src ioffset md0 md1 md2
    global_load_short_d16 \dst \base \src \ioffset \md0 \md1 \md2
.endm

.macro _global_load_d16_hi_b16 dst base src ioffset md0 md1 md2
    global_load_short_d16_hi \dst \base \src \ioffset \md0 \md1 \md2
.endm

.macro _global_load_d16_u8 dst base src ioffset md0 md1 md2
    global_load_ubyte_d16 \dst \base \src \ioffset \md0 \md1 \md2
.endm

.macro _global_load_d16_hi_u8 dst base src ioffset md0 md1 md2
    global_load_ubyte_d16_hi \dst \base \src \ioffset \md0 \md1 \md2
.endm

.macro _global_load_u16 dst base src ioffset md0 md1 md2
    global_load_ushort \dst \base \src \ioffset \md0 \md1 \md2
.endm

.macro _global_store_b32 base src src2 md0 md1 md2
    global_store_dword \base \src \src2 \md0 \md1 \md2
.endm

.macro _global_store_b64 base src src2 md0 md1 md2
    global_store_dwordx2 \base \src \src2 \md0 \md1 \md2
.endm

.macro _global_store_b96 base src src2 md0 md1 md2
    global_store_dwordx3 \base \src \src2 \md0 \md1 \md2
.endm

.macro _global_store_b128 base src src2 md0 md1 md2
    global_store_dwordx4 \base \src \src2 \md0 \md1 \md2
.endm

.macro _global_store_d16_b16 base src src2 md0 md1 md2
    global_store_short \base \src \src2 \md0 \md1 \md2
.endm

.macro _global_store_d16_hi_b16 base src src2 md0 md1 md2
    global_store_short_d16_hi \base \src \src2 \md0 \md1 \md2
.endm

.macro _global_store_d16_u8 base src src2 md0 md1 md2
    global_store_ubyte_d16 \base \src \src2 \md0 \md1 \md2
.endm

.macro _global_store_d16_hi_u8 base src src2 md0 md1 md2
    global_store_ubyte_d16_hi \base \src \src2 \md0 \md1 \md2
.endm

.macro _global_store_u16 base src src2 md0 md1 md2
    global_store_ushort \base \src \src2 \md0 \md1 \md2
.endm

.macro _global_atomic_cmpswap_b32 tmp base data src ioffset md
    global_atomic_cmpswap \tmp \base \data \src \ioffset \md
.endm

.macro _global_atomic_cmpswap_b64 tmp base data src ioffset md
    global_atomic_cmpswap_x2 \tmp \base \data \src \ioffset \md
.endm


/******************************************/
/* Magic div and mod functions            */
/******************************************/
.macro V_MAGIC_DIV dstIdx:req, dividend:req, magicNumber:req, magicShift:req, magicA:req
    v_mul_hi_u32 v[\dstIdx+1], \dividend, \magicNumber
    v_mul_lo_u32 v[\dstIdx+0], \dividend, \magicA
    _v_add_u32 v[\dstIdx+0], v[\dstIdx+0], v[\dstIdx+1]
    v_lshrrev_b32 v[\dstIdx+0], \magicShift, v[\dstIdx+0]
.endm

/******************************************/
/* VGPR Assignments                       */
/******************************************/
/* ValuC range: [0-0), serializedStore enabled */
.set vgprValuC, 0
/* ValuA/B   Xn=PLR buffer idx,  In=InnerUnroll idx */
.set vgprValuA_X0_I0, 0
.set vgprValuA_X1_I0, 2
.set vgprG2LA, 24
.set vgprValuB_X0_I0, 4
.set vgprValuB_X1_I0, 12
.set vgprG2LB, 32
.set vgprLocalWriteAddrA, 20
.set vgprLocalWriteAddrB, 21
.set vgprGlobalReadOffsetA, 22
.set vgprGlobalReadOffsetB, 23
.set vgprLocalReadAddrA, 40
.set vgprLocalReadAddrB, 41
.set vgprSerial, 42
/* Num VGPR=256 */
/* Num AccVGPR=128 */

/******************************************/
/* SGPR Assignments                       */
/******************************************/
.set sgprKernArgAddress, 0 // (2)
.set sgprWorkGroup0, 2 // (1)
.set sgprWorkGroup1, 3 // (1)
.set sgprWorkGroup2, 4 // (1)
.set sgprLoopCounterL, 5 // (1)
.set sgprOrigLoopCounter, 6 // (1)
.set sgprSrdA, 8 // (4)
.set sgprSrdB, 12 // (4)
.set sgprSrdD, 16 // (4)
.set sgprSrdC, 20 // (4)
.set sgprTensor2dSizeA, 24 // (2)
.set sgprTensor2dSizeB, 26 // (2)
.set sgprAddressD, 28 // (2)
.set sgprAddressC, 30 // (2)
.set sgprAddressA, 32 // (2)
.set sgprAddressB, 34 // (2)
.set sgprAlpha, 36 // (2)
.set sgprBeta, 38 // (2)
.set sgprStridesD, 40 // (2)
.set sgprStridesC, 42 // (2)
.set sgprStridesA, 44 // (2)
.set sgprStridesB, 46 // (2)
.set sgprSizesFree, 48 // (3)
.set sgprSizesSum, 51 // (1)
.set sgprOrigStaggerUIter, 52 // (1)
.set sgprNumWorkGroups0, 53 // (1)
.set sgprNumWorkGroups1, 54 // (1)
.set sgprNumFullBlocks, 55 // (1)
.set sgprWgmRemainder1, 56 // (1)
.set sgprMagicNumberWgmRemainder1, 57 // (1)
.set sgprShadowLimitA, 0 // (2)
.set sgprShadowLimitB, 28 // (2)
.set sgprStaggerUIter, 7 // (1)
.set sgprWrapUA, 30 // (2)
.set sgprWrapUB, 32 // (2)
.set sgprGlobalReadIncsA, 34 // (1)
.set sgprGlobalReadIncsB, 35 // (1)
.set sgprScalarGlobalReadOffsetA, 60 // (3)
.set sgprScalarGlobalReadOffsetB, 63 // (3)
/* max SGPR=71 */

/* Size Assignments */
.set sgprSizeI, sgprSizesFree+0
.set sgprSizeJ, sgprSizesFree+1
.set sgprSizeK, sgprSizesFree+2
.set sgprSizeL, sgprSizesSum+0

/* Stride Assignments */
.set constStrideD0I, 1
.set sgprStrideD1J, sgprStridesD+0
.set sgprStrideDK, sgprStridesD+1
.set constStrideC0I, 1
.set sgprStrideC1J, sgprStridesC+0
.set sgprStrideCK, sgprStridesC+1
.set constStrideAL, 1
.set sgprStrideA0I, sgprStridesA+0
.set sgprStrideAK, sgprStridesA+1
.set constStrideBL, 1
.set sgprStrideB1J, sgprStridesB+0
.set sgprStrideBK, sgprStridesB+1

.set MT0, 128
.set MT1, 128
.set DepthU, 8
.set GSU, 1
.set BpeA, 8
.set BpeALog2, 3
.set BpeB, 8
.set BpeBLog2, 3
/* Number of elements to shift-left SRD */
.set SrdShiftLeftA, 1
.set SrdShiftLeftB, 1
/* 2GB limit - set offsets to -1 to exceed this and clamp */
.set BufferLimitA, 0xffffffff
.set BufferLimitB, 0xffffffff
.set BufferOOB, 0xfffff000

/******************************************/
/* Bits 127:96 of SRD.                    */
/* hex: 0x00020000                        */
/* dst_sel_x (3b): 0                      */
/* dst_sel_y (3b): 0                      */
/* dst_sel_z (3b): 0                      */
/* dst_sel_w (3b): 0                      */
/* num_format (3b): 0                     */
/* data_format (4b): 4                    */
/* user_vm_enable (1b): 0                 */
/* user_vm_mode (1b): 0                   */
/* index_stride (2b): 0                   */
/* add_tid_enable (1b): 0                 */
/* _unusedA (3b): 0                       */
/* nv (1b): 0                             */
/* _unusedB (2b): 0                       */
/* type (2b): 0                           */
/******************************************/
.set Srd127_96, 0x00020000

/* Global Offset A */
.macro GLOBAL_OFFSET_A vgprAddr:req vgprOffsetL:req vgprOffset0I:req vgprTmp:req
v_mul_lo_u32 v[\vgprTmp+0], s[sgprStrideA0I], v[\vgprOffset0I] // mul d1 lower
_v_add_co_u32 v[\vgprAddr+0], vcc, v[\vgprOffsetL], v[\vgprTmp+0] // accumulate K lower
_v_add_u32 v[\vgprAddr+0], 0x1, v[\vgprAddr+0]     // add prepad for pointer shift
v_lshlrev_b32 v[\vgprAddr+0], 0x3, v[\vgprAddr+0]  // offset *= bytes/element
.endm

/* Global Offset B */
.macro GLOBAL_OFFSET_B vgprAddr:req vgprOffsetL:req vgprOffset1J:req vgprTmp:req
v_mul_lo_u32 v[\vgprTmp+0], s[sgprStrideB1J], v[\vgprOffset1J] // mul d1 lower
_v_add_co_u32 v[\vgprAddr+0], vcc, v[\vgprOffsetL], v[\vgprTmp+0] // accumulate K lower
_v_add_u32 v[\vgprAddr+0], 0x1, v[\vgprAddr+0]     // add prepad for pointer shift
v_lshlrev_b32 v[\vgprAddr+0], 0x3, v[\vgprAddr+0]  // offset *= bytes/element
.endm

/******************************************/
/* Dynamic Scalar Divide: vQuotient=vDividend/vDivisor; vRemainder=vDividend%vDivisor; */
/******************************************/
.macro DYNAMIC_VECTOR_DIVIDE vQuotient vRemainder vDividend vDivisor vTmp0 vTmp1 sTmp
v_cvt_f32_u32 v[\vQuotient], v[\vDivisor]          // 
v_rcp_f32 v[\vQuotient], v[\vQuotient]             // 
v_mul_f32 v[\vQuotient], 0x4f800000, v[\vQuotient] // 
v_cvt_u32_f32 v[\vQuotient], v[\vQuotient]         // 
v_mul_lo_u32 v[\vRemainder], v[\vDivisor], v[\vQuotient] // 
v_mul_hi_u32 v[\vTmp0], v[\vDivisor], v[\vQuotient] // 
_v_sub_co_u32 v[\vTmp1], vcc, 0x0, v[\vRemainder]  // 
v_cmp_ne_i32 s[\sTmp:\sTmp+1], 0x0, v[\vTmp0]      // 
v_cndmask_b32 v[\vRemainder], v[\vTmp1], v[\vRemainder], s[\sTmp:\sTmp+1] // 
v_mul_hi_u32 v[\vRemainder], v[\vRemainder], v[\vQuotient] // 
_v_sub_co_u32 v[\vTmp0], vcc, v[\vQuotient], v[\vRemainder] // 
_v_add_co_u32 v[\vQuotient], vcc, v[\vQuotient], v[\vRemainder] // 
v_cndmask_b32 v[\vQuotient], v[\vQuotient], v[\vTmp0], s[\sTmp:\sTmp+1] // 
v_mul_hi_u32 v[\vQuotient], v[\vQuotient], v[\vDividend] // 
v_mul_lo_u32 v[\vRemainder], v[\vQuotient], v[\vDivisor] // 
_v_sub_co_u32 v[\vTmp0], vcc, v[\vDividend], v[\vRemainder] // 
v_cmp_ge_u32 s[\sTmp:\sTmp+1], v[\vDividend], v[\vRemainder] // 
_v_add_co_u32 v[\vRemainder], vcc, 0x1, v[\vQuotient] // 
_v_add_co_u32 v[\vTmp1], vcc, -1, v[\vQuotient]    // 
v_cmp_le_u32 vcc, v[\vDivisor], v[\vTmp0]          // 
s_and_b64 vcc, s[\sTmp:\sTmp+1], vcc               // 
v_cndmask_b32 v[\vQuotient], v[\vQuotient], v[\vRemainder], vcc // 
v_cndmask_b32 v[\vQuotient], v[\vTmp1], v[\vQuotient], s[\sTmp:\sTmp+1] // 
v_cmp_ne_i32 vcc, 0x0, v[\vDivisor]                // 
v_cndmask_b32 v[\vQuotient], -1, v[\vQuotient], vcc // final result
v_mul_lo_u32 v[\vRemainder], v[\vQuotient], v[\vDivisor] // 
_v_sub_co_u32 v[\vRemainder], vcc, v[\vDividend], v[\vRemainder] // final result
.endm


	;; [unrolled: 1-line block ×3, first 2 shown]
/******************************************/
/* Allocate Resources                     */
/******************************************/

Cijk_Alik_Bljk_CB_MT128x128x8_MI32x32x2x1_SE_1LDSB0_APM1_AF0EM1_AF1EM1_AMAS0_ASE_ASAE01_ASCE01_ASEM1_BL1_DTLA0_DTLB0_DVO0_EPS1_FL0_GLVWA1_GLVWB1_GRVW1_GSU1_GSUASB_ISA908_IU1_K1_KLA_LBSPPA0_LBSPPB0_LPA2_LPB2_LDL1_LRVW1_LDW0_FMA_MDA2_MMFGLC_NTC0_NTD0_NEPBS0_NLCA1_NLCB1_ONLL1_OPLV0_PK0_PAP0_PGR1_PLR1_SIA3_SS0_SU32_SUM0_SUS256_SPO0_SRVW2_SSO0_SVW2_SNLL0_TT1_128_TLDS0_UMLDSA0_UMLDSB0_USFGROn1_VAW1_VSn1_VW1_VWB1_WSGRA1_WSGRB1_WG128_2_1_WGM8_preloaded: // Kernel start when preloading

/* Load Kernel Args */
_s_load_b512 s[24:39], s[sgprKernArgAddress:sgprKernArgAddress+1], 0x0 // 
_s_load_b512 s[40:55], s[sgprKernArgAddress:sgprKernArgAddress+1], 0x40 // 
_s_load_b64 s[56:57], s[sgprKernArgAddress:sgprKernArgAddress+1], 0x80 // 
s_mov_b32 m0, 0xc180                               // LDS clamp at 49536 bytes
v_mov_b32 v[vgprSerial], v0                        // thread serial id

/******************************************/
/* Local Read Addresses                   */
/******************************************/


/* local read addresses: tile assignments a/b */

/*lr0I*/
v_and_b32 v1, 63, v[vgprSerial]                    // 0. thread id in wave: wtid = tid % wavelength(64)
v_and_b32 v0, 31, v1                               // 1. N offset: nIdx = wtid % MI_N(32)
                                                   // 1. N offset: nOffset = nIdx * nStride(1) (multiplier is 1, do nothing)
                                                   // 2. block offset: bnIdx = bnIdx % num1DBlocks(1) is 0. do nothing
                                                   // 4. apply VectorWidth: bnOffset = bnOffset * vw(1) (multiplier is 1, do nothing)
v_lshrrev_b32 v1, 5, v1                            // 5. K offset: kIdx = wtid / (MIN(32) * MIBB(1))
s_mov_b32 s7, 0x82                                 // 5. K offset: lrKOffset = kIdx * mStride(130)
v_mul_lo_u32 v1, s7, v1                            // 5. K offset: lrKOffset = kIdx * mStride(130)
_v_add_u32 v0, v1, v0                              // 6. offset in wave: lrOffset = bnOffset + lrKOffset
v_lshrrev_b32 v2, 6, v[vgprSerial]                 // 7. wave offset in N dimen: wtid = tid / dividedForWaveId(64)
v_and_b32 v1, 3, v2                                // 7. wave offset in M dimen: wtid0 = wtid / num1DWaves(4)
v_lshlrev_b32 v1, 0x5, v1                          // 7. wave offset in M dimen: wOffset = wtid0 * W0Stride(32)
_v_add_u32 v0, v1, v0                              // 8. final local read offset: flrOffset = lrOffset + WOffset
/*lr1J*/
v_and_b32 v2, 63, v[vgprSerial]                    // 0. thread id in wave: wtid = tid % wavelength(64)
v_and_b32 v1, 31, v2                               // 1. N offset: nIdx = wtid % MI_N(32)
                                                   // 1. N offset: nOffset = nIdx * nStride(1) (multiplier is 1, do nothing)
                                                   // 2. block offset: bnIdx = bnIdx % num1DBlocks(1) is 0. do nothing
                                                   // 4. apply VectorWidth: bnOffset = bnOffset * vw(1) (multiplier is 1, do nothing)
v_lshrrev_b32 v2, 5, v2                            // 5. K offset: kIdx = wtid / (MIN(32) * MIBB(1))
s_mov_b32 s7, 0x82                                 // 5. K offset: lrKOffset = kIdx * mStride(130)
v_mul_lo_u32 v2, s7, v2                            // 5. K offset: lrKOffset = kIdx * mStride(130)
_v_add_u32 v1, v2, v1                              // 6. offset in wave: lrOffset = bnOffset + lrKOffset


/* local read addresses: final offsets a */

v_lshlrev_b32 v[vgprLocalReadAddrA], 0x3, v0       // Final Offset: offset = (lro0)*bpe


/* local read addresses: final offsets b */

v_lshlrev_b32 v[vgprLocalReadAddrB], 0x3, v1       // Final Offset: offset = (lro1)*bpe


/* local read addresses: declare addresses a */

/* N/A */


/* local read addresses: declare addresses b */

_v_add_co_u32 v[vgprLocalReadAddrB+0], vcc, 0x2100, v[vgprLocalReadAddrB+0] //  += LdsOffsetB (lower)


/* global read addresses: tile offset assignment a */

/* LVCA = 8 */
/* v0 = (local)groA-tile = serial/LVCA (note (wgA*MTA) will be added to SRD) */
/* v1 = groA-unroll = serial%LVCA */
v_and_b32 v2, 63, v[vgprSerial]                    // v2 = v[vgprSerial] % 64
v_lshrrev_b32 v0, 3, v2                            // v0 = v2 / 8
v_and_b32 v1, 7, v2                                // v1 = v2 % 8
v_readfirstlane_b32 s58, v[vgprSerial]             // WaveIdxWavefrontWidth
s_lshr_b32 s58, s58, 0x6                           // WaveId
s_mul_i32 s58, s58, 32                             // Global Read Wave: each wave loads continuous lsp(8)*nrp(4) columns
_v_add_u32 v0, s58, v0                             // Global Read Wave: add back to column index
/* gro-unroll *= glvw */
                                                   // v1 = v1 * 1 (multiplier is 1, do nothing)


/* global read addresses: tile offset assignment b */

/* LVCB = 8 */
/* v2 = (local)groB-tile = serial/LVCB (note (wgB*MTB) will be added to SRD) */
/* v3 = groB-unroll = serial%LVCB */
v_and_b32 v4, 63, v[vgprSerial]                    // v4 = v[vgprSerial] % 64
v_lshrrev_b32 v2, 3, v4                            // v2 = v4 / 8
v_and_b32 v3, 7, v4                                // v3 = v4 % 8
v_readfirstlane_b32 s58, v[vgprSerial]             // WaveIdxWavefrontWidth
s_lshr_b32 s58, s58, 0x6                           // WaveId
s_mul_i32 s58, s58, 32                             // Global Read Wave: each wave loads continuous lsp(8)*nrp(4) columns
_v_add_u32 v2, s58, v2                             // Global Read Wave: add back to column index
/* gro-unroll *= glvw */
                                                   // v3 = v3 * 1 (multiplier is 1, do nothing)


/******************************************/
/* Local Write Addresses                  */
/******************************************/

/* lwaTileAssignmentA = v0 */

/* lwaTileAssignmentB = v2 */

/* lwaUnrollAssignmentA = v1 */

/* lwaUnrollAssignmentB = v3 */


/* local write addresses: first offset a */

v_mul_u32_u24 v[vgprLocalWriteAddrA], 0x82, v1     // lwAL**(MTA + PAD)
_v_add_lshl_u32 v[vgprLocalWriteAddrA], v0, v[vgprLocalWriteAddrA], 0x3 // lwFOA = (lwAA + lwAL*(MT0I+PAD))*bpe


/* local write addresses: first offset b */

v_mul_u32_u24 v[vgprLocalWriteAddrB], 0x82, v3     // lwBL**(MTB + PAD)
_v_add_lshl_u32 v[vgprLocalWriteAddrB], v2, v[vgprLocalWriteAddrB], 0x3 // lwFOB = (lwBB + lwBL*(MT1J+PAD))*bpe
_v_add_co_u32 v[vgprLocalWriteAddrB], vcc, 0x2100, v[vgprLocalWriteAddrB] // lwFOB = lwB1J + lwBL*MT1J + LDS_OFFSET_B=1056*8


	;; [unrolled: 1-line block ×7, first 2 shown]
s_waitcnt lgkmcnt(0)                               // wait for 136 bytes of kern args
s_mov_b64 s[sgprSrdC+0:sgprSrdC+0+1], s[sgprAddressC+0:sgprAddressC+0+1] // copy addressC
s_mov_b64 s[sgprSrdD+0:sgprSrdD+0+1], s[sgprAddressD+0:sgprAddressD+0+1] // copy addressD
s_sub_u32 s[sgprSrdA+0], s[sgprAddressA+0], 8      // pre-pad to make room for possible pointer shift
s_subb_u32 s[sgprSrdA+1], s[sgprAddressA+1], 0     // pre-pad to make room for possible pointer shift
s_sub_u32 s[sgprSrdB+0], s[sgprAddressB+0], 8      // pre-pad to make room for possible pointer shift
s_subb_u32 s[sgprSrdB+1], s[sgprAddressB+1], 0     // pre-pad to make room for possible pointer shift

.set AddressD, UNDEF
.set AddressC, UNDEF
.set AddressA, UNDEF
.set AddressB, UNDEF

/* Short circuit condition if Alpha == 0, then sumDims=0 */
v_cmp_eq_f32 vcc, s[sgprAlpha], 0.0                // Alpha.real == 0.0f ?
s_cbranch_vccz label_AlphaNonZero                  // branch if Alpha.real != 0
v_cmp_eq_f32 vcc, s[sgprAlpha+1], 0.0              // Alpha.imag == 0.0f ?
s_cbranch_vccz label_AlphaNonZero                  // branch if Alpha.imag != 0
s_mov_b32 s[sgprSizesSum+0], 0x0                   // Set summation dim=0 if Alpha == 0
label_AlphaNonZero:


	;; [unrolled: 1-line block ×3, first 2 shown]
/******************************************/
/* Begin setupNewTile, isPap=False           */
/******************************************/


/* global read addresses: work-group */

/* graWorkGroup mapping */
s_mov_b32 s69, 0x10000001L                         // magic number for WGM==8
s_mul_hi_u32 s67, s[sgprWorkGroup1], s69           // s_magic mul
s_mul_i32 s66, s[sgprWorkGroup1], s69              // s_magic mul
s_lshr_b64 s[66:67], s[66:67], 31                  // sMagicDiv
s_mul_i32 s67, s66, 8                              // quotient * non-magic divisor
s_sub_u32 s67, s[sgprWorkGroup1], s67              // WorkGroup1=remainder
s_mul_i32 s67, s67, s[sgprNumWorkGroups0]          // (wg1 % WGM)*nwg0
s_add_u32 s67, s67, s[sgprWorkGroup0]              // wgSerial = wg0 + (wg1 % WGM)*nwg1
s_cmp_ge_u32 s66, s[sgprNumFullBlocks]             // blockId >= numFullBlocks ?
s_cmov_b32 s69, s[sgprMagicNumberWgmRemainder1]    // 
s_cselect_b32 s68, s[sgprWgmRemainder1], 8         // 
s_mul_hi_u32 s3, s67, s69                          // s_magic mul
s_mul_i32 s2, s67, s69                             // s_magic mul
s_lshr_b64 s[2:3], s[2:3], 31                      // sMagicDiv
s_mul_i32 s[sgprWorkGroup1], s[sgprWorkGroup0], s68 // quotient * non-magic divisor
s_sub_u32 s[sgprWorkGroup1], s67, s[sgprWorkGroup1] // WorkGroup1=remainder
s_mul_i32 s66, s66, 8                              // blockId * WGM
s_add_u32 s[sgprWorkGroup1], s[sgprWorkGroup1], s66 // wg1 += blockId * WGM


/* global read addresses: unroll assignment a */

/* v1 */


/* global read addresses: unroll assignment b */

/* v3 */


/* global read addresses: other free assignments */

/* s[sgprWorkGroup2] */


/* global read addresses: tile offsets a */


	;; [unrolled: 1-line block ×3, first 2 shown]
/* global read addresses: tile offsets b */


	;; [unrolled: 1-line block ×3, first 2 shown]
/* global read addresses: unroll offsets a */



/* global read addresses: unroll offsets b */


	;; [unrolled: 1-line block ×3, first 2 shown]
/* global read addresses: final offsets a */

GLOBAL_OFFSET_A vgprGlobalReadOffsetA+0,  1,  0, 4 // gROA_0_0_0_0
s_mul_i32 s[sgprScalarGlobalReadOffsetA+0], s[sgprStrideA0I], 8 // compute offset diff (scaled tileDim)
s_lshl_b32 s[sgprScalarGlobalReadOffsetA+0], s[sgprScalarGlobalReadOffsetA+0], 0x3 // scalar offset *= bytes/element
s_mul_i32 s[sgprScalarGlobalReadOffsetA+1], s[sgprStrideA0I], 16 // compute offset diff (scaled tileDim)
s_lshl_b32 s[sgprScalarGlobalReadOffsetA+1], s[sgprScalarGlobalReadOffsetA+1], 0x3 // scalar offset *= bytes/element
	;; [unrolled: 2-line block ×3, first 2 shown]


/* global read addresses: final offsets b */

GLOBAL_OFFSET_B vgprGlobalReadOffsetB+0,  3,  2, 4 // gROB_0_0_0_0
s_mul_i32 s[sgprScalarGlobalReadOffsetB+0], s[sgprStrideB1J], 8 // compute offset diff (scaled tileDim)
s_lshl_b32 s[sgprScalarGlobalReadOffsetB+0], s[sgprScalarGlobalReadOffsetB+0], 0x3 // scalar offset *= bytes/element
s_mul_i32 s[sgprScalarGlobalReadOffsetB+1], s[sgprStrideB1J], 16 // compute offset diff (scaled tileDim)
s_lshl_b32 s[sgprScalarGlobalReadOffsetB+1], s[sgprScalarGlobalReadOffsetB+1], 0x3 // scalar offset *= bytes/element
	;; [unrolled: 2-line block ×3, first 2 shown]


/* global read addresses: addresses a */

/* max read offset = size[n] * stride[n-1] */
s_mul_hi_u32 s69, s[sgprWorkGroup0], 128           // WorkGroup[01] * MT
s_mul_i32 s68, s[sgprWorkGroup0], 128              // WorkGroup[01] * MT
s_mul_hi_u32 s69, s68, s[sgprStrideA0I]            // tlu=0, scaled tile-offset by stride
s_mul_i32 s68, s68, s[sgprStrideA0I]               // tlu=0, scaled tile-offset by stride
s_sub_u32 s[sgprShadowLimitA+0], s[sgprTensor2dSizeA], s68 // sub tileStart
s_subb_u32 s[sgprShadowLimitA+1], s[sgprTensor2dSizeA+1], s69 // sub tileStart
s_lshl_b64 s[sgprShadowLimitA:sgprShadowLimitA+1], s[sgprShadowLimitA:sgprShadowLimitA+1], 0x3 // Set limit to use bytes
s_add_u32 s[sgprShadowLimitA+0], s[sgprShadowLimitA+0], 8 // extend limit for pre-pad
s_addc_u32 s[sgprShadowLimitA+1], s[sgprShadowLimitA+1], 0 // extend limit for pre-pad
s_cmp_eq_u32 s[sgprShadowLimitA+1], 0              // are we within 2^32?
s_cselect_b32 s[sgprSrdA+2], s[sgprShadowLimitA+0], BufferLimitA // Move shadow to real if we are within 2^32
s_mul_hi_u32 s67, s[sgprStrideAK], s[sgprWorkGroup2] // Stride*WG
s_mul_i32 s66, s[sgprStrideAK], s[sgprWorkGroup2]  // Stride*WG
s_add_u32 s68, s68, s66                            // accum wg term to tilestart
s_addc_u32 s69, s69, s67                           // accum wg term to tilestart
s_lshl_b64 s[68:69], s[68:69], 0x3                 // tileStart *= BPE
s_add_u32 s[sgprSrdA+0], s[sgprSrdA+0], s68        // SRD base = Address+ tileStart0
s_addc_u32 s[sgprSrdA+1], s[sgprSrdA+1], s69       // SRD base = Address+ tileStart1
s_mov_b32 s[sgprSrdA+3], Srd127_96                 // Set bits 127_96 in SRD


/* global read addresses: addresses b */

/* max read offset = size[n] * stride[n-1] */
s_mul_hi_u32 s69, s[sgprWorkGroup1], 128           // WorkGroup[01] * MT
s_mul_i32 s68, s[sgprWorkGroup1], 128              // WorkGroup[01] * MT
s_mul_hi_u32 s69, s68, s[sgprStrideB1J]            // tlu=0, scaled tile-offset by stride
s_mul_i32 s68, s68, s[sgprStrideB1J]               // tlu=0, scaled tile-offset by stride
s_sub_u32 s[sgprShadowLimitB+0], s[sgprTensor2dSizeB], s68 // sub tileStart
s_subb_u32 s[sgprShadowLimitB+1], s[sgprTensor2dSizeB+1], s69 // sub tileStart
s_lshl_b64 s[sgprShadowLimitB:sgprShadowLimitB+1], s[sgprShadowLimitB:sgprShadowLimitB+1], 0x3 // Set limit to use bytes
s_add_u32 s[sgprShadowLimitB+0], s[sgprShadowLimitB+0], 8 // extend limit for pre-pad
s_addc_u32 s[sgprShadowLimitB+1], s[sgprShadowLimitB+1], 0 // extend limit for pre-pad
s_cmp_eq_u32 s[sgprShadowLimitB+1], 0              // are we within 2^32?
s_cselect_b32 s[sgprSrdB+2], s[sgprShadowLimitB+0], BufferLimitB // Move shadow to real if we are within 2^32
s_mul_hi_u32 s67, s[sgprStrideBK], s[sgprWorkGroup2] // Stride*WG
s_mul_i32 s66, s[sgprStrideBK], s[sgprWorkGroup2]  // Stride*WG
s_add_u32 s68, s68, s66                            // accum wg term to tilestart
s_addc_u32 s69, s69, s67                           // accum wg term to tilestart
s_lshl_b64 s[68:69], s[68:69], 0x3                 // tileStart *= BPE
s_add_u32 s[sgprSrdB+0], s[sgprSrdB+0], s68        // SRD base = Address+ tileStart0
s_addc_u32 s[sgprSrdB+1], s[sgprSrdB+1], s69       // SRD base = Address+ tileStart1
s_mov_b32 s[sgprSrdB+3], Srd127_96                 // Set bits 127_96 in SRD


/* global read addresses: increments a */

s_mov_b32 s[sgprGlobalReadIncsA+0], DepthU*BpeA    // incrA (unrollIdx)


/* global read addresses: increments b */

s_mov_b32 s[sgprGlobalReadIncsB+0], DepthU*BpeB    // incrB (unrollIdx)

/* declare loop num iterations */


s_lshr_b32 s[sgprLoopCounterL], s[sgprSizesSum+0], 3 // s[sgprLoopCounterL] = s[sgprSizesSum+0] / 8
s_mov_b32 s[sgprOrigLoopCounter], s[sgprLoopCounterL] // copy loop counter

s_and_b32 s[sgprStaggerUIter], s[sgprOrigStaggerUIter], s[sgprWorkGroup0] // Compute actual stagger start for this tile
s_lshl_b32 s[sgprStaggerUIter], s[sgprStaggerUIter], 2 // shift by StaggerUStride


/* SRDs += (StaggerUIter) * GlobalReadIncsA+0 */
s_mul_hi_u32 s67, s[sgprStaggerUIter], s[sgprGlobalReadIncsA+0] //  stagger byte offset
s_mul_i32 s66, s[sgprStaggerUIter], s[sgprGlobalReadIncsA+0] //  stagger byte offset
s_mul_hi_u32 s[sgprWrapUA+1], s[sgprLoopCounterL], s[sgprGlobalReadIncsA+0] // Number of bytes accessed by the unroll loop
s_mul_i32 s[sgprWrapUA+0], s[sgprLoopCounterL], s[sgprGlobalReadIncsA+0] // Number of bytes accessed by the unroll loop
s_sub_u32 s[sgprWrapUA+0], s[sgprGlobalReadIncsA+0], s[sgprWrapUA+0] // remove one iteration
s_subb_u32 s[sgprWrapUA+1], 0, s[sgprWrapUA+1]     // remove one iteration
s_add_u32 s[sgprSrdA+0], s[sgprSrdA+0], s66        // gra SRD += inc(lower)
s_addc_u32  s[sgprSrdA+1], s[sgprSrdA+1], s67      // gra SRD += inc(upper)
s_sub_u32 s[sgprShadowLimitA+0], s[sgprShadowLimitA+0], s66 // limit -= inc)
s_subb_u32 s[sgprShadowLimitA+1], s[sgprShadowLimitA+1], s67 // limit -= inc)
s_cmp_eq_u32 s[sgprShadowLimitA+1], 0              // are we within 2^32?
s_cselect_b32 s[sgprSrdA+2], s[sgprShadowLimitA+0], BufferLimitA // Move shadow to real if we are within 2^32


/* SRDs += (StaggerUIter) * GlobalReadIncsB+0 */
s_mul_hi_u32 s67, s[sgprStaggerUIter], s[sgprGlobalReadIncsB+0] //  stagger byte offset
s_mul_i32 s66, s[sgprStaggerUIter], s[sgprGlobalReadIncsB+0] //  stagger byte offset
s_mul_hi_u32 s[sgprWrapUB+1], s[sgprLoopCounterL], s[sgprGlobalReadIncsB+0] // Number of bytes accessed by the unroll loop
s_mul_i32 s[sgprWrapUB+0], s[sgprLoopCounterL], s[sgprGlobalReadIncsB+0] // Number of bytes accessed by the unroll loop
s_sub_u32 s[sgprWrapUB+0], s[sgprGlobalReadIncsB+0], s[sgprWrapUB+0] // remove one iteration
s_subb_u32 s[sgprWrapUB+1], 0, s[sgprWrapUB+1]     // remove one iteration
s_add_u32 s[sgprSrdB+0], s[sgprSrdB+0], s66        // gra SRD += inc(lower)
s_addc_u32  s[sgprSrdB+1], s[sgprSrdB+1], s67      // gra SRD += inc(upper)
s_sub_u32 s[sgprShadowLimitB+0], s[sgprShadowLimitB+0], s66 // limit -= inc)
s_subb_u32 s[sgprShadowLimitB+1], s[sgprShadowLimitB+1], s67 // limit -= inc)
s_cmp_eq_u32 s[sgprShadowLimitB+1], 0              // are we within 2^32?
s_cselect_b32 s[sgprSrdB+2], s[sgprShadowLimitB+0], BufferLimitB // Move shadow to real if we are within 2^32
s_add_u32 s[sgprStaggerUIter], s[sgprStaggerUIter], 2 // Subtract (PGR-1); StaggerUIter now contains target iteration to wrap

/* local read addresses: init pointers a */


/* localReadInitPointers */

/* local read addresses: init pointers b */


/* localReadInitPointers */


/* prefetch: global -> local */

s_cmp_eq_u32 s[sgprLoopCounterL], 0                // at last iteration?
s_cbranch_scc1 ShadowInitStart_10                  // skip to ShadowInitStart iter b/c numIter==0


_buffer_load_b64 v[vgprG2LA+0:vgprG2LA+0+1], v[vgprGlobalReadOffsetA+0], s[sgprSrdA:sgprSrdA+3], 0, offen offset:0 // G -> Reg 0_0_0_0
_buffer_load_b64 v[vgprG2LA+2:vgprG2LA+2+1], v[vgprGlobalReadOffsetA+0], s[sgprSrdA:sgprSrdA+3], s[sgprScalarGlobalReadOffsetA+0], offen offset:0 // G -> Reg 0_0_1_0
_buffer_load_b64 v[vgprG2LA+4:vgprG2LA+4+1], v[vgprGlobalReadOffsetA+0], s[sgprSrdA:sgprSrdA+3], s[sgprScalarGlobalReadOffsetA+1], offen offset:0 // G -> Reg 0_0_2_0
_buffer_load_b64 v[vgprG2LA+6:vgprG2LA+6+1], v[vgprGlobalReadOffsetA+0], s[sgprSrdA:sgprSrdA+3], s[sgprScalarGlobalReadOffsetA+2], offen offset:0 // G -> Reg 0_0_3_0


_buffer_load_b64 v[vgprG2LB+0:vgprG2LB+0+1], v[vgprGlobalReadOffsetB+0], s[sgprSrdB:sgprSrdB+3], 0, offen offset:0 // G -> Reg 0_0_0_0
_buffer_load_b64 v[vgprG2LB+2:vgprG2LB+2+1], v[vgprGlobalReadOffsetB+0], s[sgprSrdB:sgprSrdB+3], s[sgprScalarGlobalReadOffsetB+0], offen offset:0 // G -> Reg 0_0_1_0
_buffer_load_b64 v[vgprG2LB+4:vgprG2LB+4+1], v[vgprGlobalReadOffsetB+0], s[sgprSrdB:sgprSrdB+3], s[sgprScalarGlobalReadOffsetB+1], offen offset:0 // G -> Reg 0_0_2_0
_buffer_load_b64 v[vgprG2LB+6:vgprG2LB+6+1], v[vgprGlobalReadOffsetB+0], s[sgprSrdB:sgprSrdB+3], s[sgprScalarGlobalReadOffsetB+2], offen offset:0 // G -> Reg 0_0_3_0


/* global read inc A loopL */
s_add_u32 s68, s[sgprLoopCounterL], 1              // remove pf(1)
s_cmp_eq_u32 s[sgprStaggerUIter], s68              // Is this wrapIter? (pf)
s_cselect_b32 s66, s[sgprWrapUA+0], s[sgprGlobalReadIncsA+0] // incLower <- ?
s_cselect_b32 s67, s[sgprWrapUA+1], 0              // incUpper <- ?
s_add_u32 s[sgprSrdA+0], s[sgprSrdA+0], s66        // gra SRD += inc(lower)
s_addc_u32  s[sgprSrdA+1], s[sgprSrdA+1], s67      // gra SRD += inc(upper)
s_sub_u32 s[sgprShadowLimitA+0], s[sgprShadowLimitA+0], s66 // limit -= inc)
s_subb_u32 s[sgprShadowLimitA+1], s[sgprShadowLimitA+1], s67 // limit -= inc)
s_cmp_eq_u32 s[sgprShadowLimitA+1], 0              // are we within 2^32?
s_cselect_b32 s[sgprSrdA+2], s[sgprShadowLimitA+0], BufferLimitA // Move shadow to real if we are within 2^32

/* global read inc B loopL */
s_add_u32 s68, s[sgprLoopCounterL], 1              // remove pf(1)
s_cmp_eq_u32 s[sgprStaggerUIter], s68              // Is this wrapIter? (pf)
s_cselect_b32 s66, s[sgprWrapUB+0], s[sgprGlobalReadIncsB+0] // incLower <- ?
s_cselect_b32 s67, s[sgprWrapUB+1], 0              // incUpper <- ?
s_add_u32 s[sgprSrdB+0], s[sgprSrdB+0], s66        // gra SRD += inc(lower)
s_addc_u32  s[sgprSrdB+1], s[sgprSrdB+1], s67      // gra SRD += inc(upper)
s_sub_u32 s[sgprShadowLimitB+0], s[sgprShadowLimitB+0], s66 // limit -= inc)
s_subb_u32 s[sgprShadowLimitB+1], s[sgprShadowLimitB+1], s67 // limit -= inc)
s_cmp_eq_u32 s[sgprShadowLimitB+1], 0              // are we within 2^32?
s_cselect_b32 s[sgprSrdB+2], s[sgprShadowLimitB+0], BufferLimitB // Move shadow to real if we are within 2^32


/******************************************/
/* End setupNewTile, isPap=False             */
/******************************************/

ShadowInitStart_10: // 

s_mov_b32 s[sgprSrdD+2], BufferOOB                 // 
s_mov_b32 s[sgprSrdD+3], Srd127_96                 // Set bits 127_96 in post-loop SRD

s_mov_b32 s[sgprSrdC+2], BufferOOB                 // 
s_mov_b32 s[sgprSrdC+3], Srd127_96                 // Set bits 127_96 in post-loop SRD


s_mul_i32 s68, MT1, s[sgprWorkGroup1]              // <- wg1*MT1
s_mul_hi_u32 s67, s68, s[sgprStrideC1J]            // CScale s68 by Stride
s_mul_i32 s66, s68, s[sgprStrideC1J]               // CScale s68 by Stride
s_lshl_b64 s[66:67], s[66:67], 3                   // scale by bpe
s_add_u32 s[sgprSrdC+0], s[sgprSrdC+0], s66        // add lo to SRD
s_addc_u32 s[sgprSrdC+1], s[sgprSrdC+1], s67       // add hi to SRD
s_mul_hi_u32 s67, s68, s[sgprStrideD1J]            // Scale s68 by Stride
s_mul_i32 s66, s68, s[sgprStrideD1J]               // Scale s68 by Stride
s_lshl_b64 s[66:67], s[66:67], 3                   // scale by bpe
s_add_u32 s[sgprSrdD+0], s[sgprSrdD+0], s66        // add lo to SRD
s_addc_u32 s[sgprSrdD+1], s[sgprSrdD+1], s67       // add hi to SRD

s_mul_hi_u32 s67, s[sgprWorkGroup2], s[sgprStrideCK] // CScale s[sgprWorkGroup2] by Stride
s_mul_i32 s66, s[sgprWorkGroup2], s[sgprStrideCK]  // CScale s[sgprWorkGroup2] by Stride
s_lshl_b64 s[66:67], s[66:67], 3                   // scale by bpe
s_add_u32 s[sgprSrdC+0], s[sgprSrdC+0], s66        // add lo to SRD
s_addc_u32 s[sgprSrdC+1], s[sgprSrdC+1], s67       // add hi to SRD
s_mul_hi_u32 s67, s[sgprWorkGroup2], s[sgprStrideDK] // Scale s[sgprWorkGroup2] by Stride
s_mul_i32 s66, s[sgprWorkGroup2], s[sgprStrideDK]  // Scale s[sgprWorkGroup2] by Stride
s_lshl_b64 s[66:67], s[66:67], 3                   // scale by bpe
s_add_u32 s[sgprSrdD+0], s[sgprSrdD+0], s66        // add lo to SRD
s_addc_u32 s[sgprSrdD+1], s[sgprSrdD+1], s67       // add hi to SRD


	;; [unrolled: 1-line block ×3, first 2 shown]
/* initC: remove C-tile 0-0 from pool */

/* initC: remove AB-tile 0-20 from pool */
v_accvgpr_write acc0, 0x0                          // initC
v_accvgpr_write acc1, 0x0                          // initC
v_accvgpr_write acc2, 0x0                          // initC
v_accvgpr_write acc3, 0x0                          // initC
v_accvgpr_write acc4, 0x0                          // initC
v_accvgpr_write acc5, 0x0                          // initC
v_accvgpr_write acc6, 0x0                          // initC
v_accvgpr_write acc7, 0x0                          // initC
v_accvgpr_write acc8, 0x0                          // initC
v_accvgpr_write acc9, 0x0                          // initC
v_accvgpr_write acc10, 0x0                         // initC
v_accvgpr_write acc11, 0x0                         // initC
v_accvgpr_write acc12, 0x0                         // initC
v_accvgpr_write acc13, 0x0                         // initC
v_accvgpr_write acc14, 0x0                         // initC
v_accvgpr_write acc15, 0x0                         // initC
v_accvgpr_write acc16, 0x0                         // initC
v_accvgpr_write acc17, 0x0                         // initC
v_accvgpr_write acc18, 0x0                         // initC
v_accvgpr_write acc19, 0x0                         // initC
v_accvgpr_write acc20, 0x0                         // initC
v_accvgpr_write acc21, 0x0                         // initC
v_accvgpr_write acc22, 0x0                         // initC
v_accvgpr_write acc23, 0x0                         // initC
v_accvgpr_write acc24, 0x0                         // initC
v_accvgpr_write acc25, 0x0                         // initC
v_accvgpr_write acc26, 0x0                         // initC
v_accvgpr_write acc27, 0x0                         // initC
v_accvgpr_write acc28, 0x0                         // initC
v_accvgpr_write acc29, 0x0                         // initC
v_accvgpr_write acc30, 0x0                         // initC
v_accvgpr_write acc31, 0x0                         // initC
v_accvgpr_write acc32, 0x0                         // initC
v_accvgpr_write acc33, 0x0                         // initC
v_accvgpr_write acc34, 0x0                         // initC
v_accvgpr_write acc35, 0x0                         // initC
v_accvgpr_write acc36, 0x0                         // initC
v_accvgpr_write acc37, 0x0                         // initC
v_accvgpr_write acc38, 0x0                         // initC
v_accvgpr_write acc39, 0x0                         // initC
v_accvgpr_write acc40, 0x0                         // initC
v_accvgpr_write acc41, 0x0                         // initC
v_accvgpr_write acc42, 0x0                         // initC
v_accvgpr_write acc43, 0x0                         // initC
v_accvgpr_write acc44, 0x0                         // initC
v_accvgpr_write acc45, 0x0                         // initC
v_accvgpr_write acc46, 0x0                         // initC
v_accvgpr_write acc47, 0x0                         // initC
v_accvgpr_write acc48, 0x0                         // initC
v_accvgpr_write acc49, 0x0                         // initC
v_accvgpr_write acc50, 0x0                         // initC
v_accvgpr_write acc51, 0x0                         // initC
v_accvgpr_write acc52, 0x0                         // initC
v_accvgpr_write acc53, 0x0                         // initC
v_accvgpr_write acc54, 0x0                         // initC
v_accvgpr_write acc55, 0x0                         // initC
v_accvgpr_write acc56, 0x0                         // initC
v_accvgpr_write acc57, 0x0                         // initC
v_accvgpr_write acc58, 0x0                         // initC
v_accvgpr_write acc59, 0x0                         // initC
v_accvgpr_write acc60, 0x0                         // initC
v_accvgpr_write acc61, 0x0                         // initC
v_accvgpr_write acc62, 0x0                         // initC
v_accvgpr_write acc63, 0x0                         // initC
v_accvgpr_write acc64, 0x0                         // initC
v_accvgpr_write acc65, 0x0                         // initC
v_accvgpr_write acc66, 0x0                         // initC
v_accvgpr_write acc67, 0x0                         // initC
v_accvgpr_write acc68, 0x0                         // initC
v_accvgpr_write acc69, 0x0                         // initC
v_accvgpr_write acc70, 0x0                         // initC
v_accvgpr_write acc71, 0x0                         // initC
v_accvgpr_write acc72, 0x0                         // initC
v_accvgpr_write acc73, 0x0                         // initC
v_accvgpr_write acc74, 0x0                         // initC
v_accvgpr_write acc75, 0x0                         // initC
v_accvgpr_write acc76, 0x0                         // initC
v_accvgpr_write acc77, 0x0                         // initC
v_accvgpr_write acc78, 0x0                         // initC
v_accvgpr_write acc79, 0x0                         // initC
v_accvgpr_write acc80, 0x0                         // initC
v_accvgpr_write acc81, 0x0                         // initC
v_accvgpr_write acc82, 0x0                         // initC
v_accvgpr_write acc83, 0x0                         // initC
v_accvgpr_write acc84, 0x0                         // initC
v_accvgpr_write acc85, 0x0                         // initC
v_accvgpr_write acc86, 0x0                         // initC
v_accvgpr_write acc87, 0x0                         // initC
v_accvgpr_write acc88, 0x0                         // initC
v_accvgpr_write acc89, 0x0                         // initC
v_accvgpr_write acc90, 0x0                         // initC
v_accvgpr_write acc91, 0x0                         // initC
v_accvgpr_write acc92, 0x0                         // initC
v_accvgpr_write acc93, 0x0                         // initC
v_accvgpr_write acc94, 0x0                         // initC
v_accvgpr_write acc95, 0x0                         // initC
v_accvgpr_write acc96, 0x0                         // initC
v_accvgpr_write acc97, 0x0                         // initC
v_accvgpr_write acc98, 0x0                         // initC
v_accvgpr_write acc99, 0x0                         // initC
v_accvgpr_write acc100, 0x0                        // initC
v_accvgpr_write acc101, 0x0                        // initC
v_accvgpr_write acc102, 0x0                        // initC
v_accvgpr_write acc103, 0x0                        // initC
v_accvgpr_write acc104, 0x0                        // initC
v_accvgpr_write acc105, 0x0                        // initC
v_accvgpr_write acc106, 0x0                        // initC
v_accvgpr_write acc107, 0x0                        // initC
v_accvgpr_write acc108, 0x0                        // initC
v_accvgpr_write acc109, 0x0                        // initC
v_accvgpr_write acc110, 0x0                        // initC
v_accvgpr_write acc111, 0x0                        // initC
v_accvgpr_write acc112, 0x0                        // initC
v_accvgpr_write acc113, 0x0                        // initC
v_accvgpr_write acc114, 0x0                        // initC
v_accvgpr_write acc115, 0x0                        // initC
v_accvgpr_write acc116, 0x0                        // initC
v_accvgpr_write acc117, 0x0                        // initC
v_accvgpr_write acc118, 0x0                        // initC
v_accvgpr_write acc119, 0x0                        // initC
v_accvgpr_write acc120, 0x0                        // initC
v_accvgpr_write acc121, 0x0                        // initC
v_accvgpr_write acc122, 0x0                        // initC
v_accvgpr_write acc123, 0x0                        // initC
v_accvgpr_write acc124, 0x0                        // initC
v_accvgpr_write acc125, 0x0                        // initC
v_accvgpr_write acc126, 0x0                        // initC
v_accvgpr_write acc127, 0x0                        // initC

s_cmp_eq_u32 s[sgprLoopCounterL], 0                // at last iteration?

/* after InitC, skip to end of prefetch last iter if numIter==0 */
s_cbranch_scc0 label_NoBranch_11                   // Only branch on scc1
s_getpc_B64 s[66:67]                               // addr of next instr
s_add_i32 s68, PrefetchGlobalLastIterEnd_5, 0x4    // target branch offset
s_add_u32 s66, s66, s68                            // add target branch offset
s_addc_u32 s67, s67, 0                             // add high and carry
s_setpc_b64 s[66:67]                               // branch to PrefetchGlobalLastIterEnd_5
label_NoBranch_11:

s_waitcnt vmcnt(0)                                 // lgkmcnt=-1 vmcnt=0 8wait for global read


/* local write a */
_ds_store_b64 v[vgprLocalWriteAddrA], v[vgprG2LA+0:vgprG2LA+0+1] offset:0 // lwoA_0_0_0_0 = (0*LSCA)*(MT0I+PAD) + (0*LSPA) = 0
_ds_store_b64 v[vgprLocalWriteAddrA], v[vgprG2LA+2:vgprG2LA+2+1] offset:64 // lwoA_0_0_1_0 = (0*LSCA)*(MT0I+PAD) + (1*LSPA) = 64
_ds_store_b64 v[vgprLocalWriteAddrA], v[vgprG2LA+4:vgprG2LA+4+1] offset:128 // lwoA_0_0_2_0 = (0*LSCA)*(MT0I+PAD) + (2*LSPA) = 128
_ds_store_b64 v[vgprLocalWriteAddrA], v[vgprG2LA+6:vgprG2LA+6+1] offset:192 // lwoA_0_0_3_0 = (0*LSCA)*(MT0I+PAD) + (3*LSPA) = 192

/* local write b */
_ds_store_b64 v[vgprLocalWriteAddrB], v[vgprG2LB+0:vgprG2LB+0+1] offset:0 // lwoB_0_0_0_0 = (0*LSCB)*(MT1J+PAD) + (0*LSPB) = 0
_ds_store_b64 v[vgprLocalWriteAddrB], v[vgprG2LB+2:vgprG2LB+2+1] offset:64 // lwoB_0_0_1_0 = (0*LSCB)*(MT1J+PAD) + (1*LSPB) = 64
_ds_store_b64 v[vgprLocalWriteAddrB], v[vgprG2LB+4:vgprG2LB+4+1] offset:128 // lwoB_0_0_2_0 = (0*LSCB)*(MT1J+PAD) + (2*LSPB) = 128
_ds_store_b64 v[vgprLocalWriteAddrB], v[vgprG2LB+6:vgprG2LB+6+1] offset:192 // lwoB_0_0_3_0 = (0*LSCB)*(MT1J+PAD) + (3*LSPB) = 192


/* local write swap a */


/* (EPS=1) local write swap internal offset -> 32768 */


/* local write swap b */


/* (EPS=1) local write swap internal offset -> 32768 */



s_waitcnt lgkmcnt(0)                               // lgkmcnt=0 vmcnt=-10prefetch wait for local write

s_waitcnt lgkmcnt(0) & vmcnt(0)                    // force waitcnt0
s_barrier //


/* local read prefetch a */

_ds_load_b64 v[vgprValuA_X0_I0+0:vgprValuA_X0_I0+0+1], v[vgprLocalReadAddrA] offset:0 // L -> Reg lro=0 swapByteOffset=0 ti=128 vIdx=0 rIdx=0 oIdx=0 buffer=0 iui=0


/* local read prefetch b */

_ds_load_b64 v[vgprValuB_X0_I0+0:vgprValuB_X0_I0+0+1], v[vgprLocalReadAddrB] offset:0 // L -> Reg lro=0 swapByteOffset=0 ti=32 vIdx=0 rIdx=0 oIdx=0 buffer=0 iui=0
_ds_load_b64 v[vgprValuB_X0_I0+2:vgprValuB_X0_I0+2+1], v[vgprLocalReadAddrB] offset:256 // L -> Reg lro=0 swapByteOffset=0 ti=32 vIdx=1 rIdx=0 oIdx=0 buffer=0 iui=0
	;; [unrolled: 1-line block ×4, first 2 shown]


/* local read inc a */

/* N/A, lro->260 */
/* self.localReadDoCntA 1 self.localReadDoCntB 1 */


/* local read inc b */

/* N/A, lro->260 */
/* self.localReadDoCntA 1 self.localReadDoCntB 1 */



/******************************************/
/* Unrolled Loop(s) - Begin               */
/******************************************/

openLoopL_12:
s_cmp_le_u32 s[sgprLoopCounterL], 0x1              // LoopCounterL < EndCounter
s_cbranch_scc1 LoopEndL_2                          // do not enter LoopL
LoopBeginL_1:


/******************************************/
/* Unrolled Loop 1/2 - Begin              */
/******************************************/

label_0013: // LoopCopy1 


/* Begin Each Unroll: Check VGPR.checkin for INT8 LW */


	;; [unrolled: 1-line block ×3, first 2 shown]
/* iter 0 */

/*  grEndMfmaIndex:7, lwStartMfmaIndex:52, lwEndMfmaIndex:59  */
/*  numMfmaForLR:2, barrierMfmaIndex:61 */
/*  mfmaIndex:0  */
_buffer_load_b64 v[vgprG2LA+0:vgprG2LA+0+1], v[vgprGlobalReadOffsetA+0], s[sgprSrdA:sgprSrdA+3], 0, offen offset:0 // G -> Reg 0_0_0_0
s_waitcnt lgkmcnt(0)                               // lgkmcnt=0 vmcnt=-1wait for prior local read local write old=0, new=0 newLW=0 newLR=0
v_add_f32 v43, -v[vgprValuA_X0_I0+0+0+0+1], 0      // Ai=-Ai
v_mfma_f32_32x32x2f32 a[0+0:15+0], v[vgprValuA_X0_I0+0+0+0], v[vgprValuB_X0_I0+0+0+0], a[0:15]
 // Cr += Ar*Br
/*  mfmaIndex:1  */
_ds_load_b64 v[vgprValuA_X1_I0+0:vgprValuA_X1_I0+0+1], v[vgprLocalReadAddrA] offset:2080 // L -> Reg lro=260 swapByteOffset=0 ti=128 vIdx=0 rIdx=0 oIdx=0 buffer=1 iui=0
_ds_load_b64 v[vgprValuB_X1_I0+0:vgprValuB_X1_I0+0+1], v[vgprLocalReadAddrB] offset:2080 // L -> Reg lro=260 swapByteOffset=0 ti=32 vIdx=0 rIdx=0 oIdx=0 buffer=1 iui=0
_ds_load_b64 v[vgprValuB_X1_I0+2:vgprValuB_X1_I0+2+1], v[vgprLocalReadAddrB] offset:2336 // L -> Reg lro=260 swapByteOffset=0 ti=32 vIdx=1 rIdx=0 oIdx=0 buffer=1 iui=0
	;; [unrolled: 1-line block ×4, first 2 shown]
/* localReadsVacancy: latencyLeft 3 */
_buffer_load_b64 v[vgprG2LA+2:vgprG2LA+2+1], v[vgprGlobalReadOffsetA+0], s[sgprSrdA:sgprSrdA+3], s[sgprScalarGlobalReadOffsetA+0], offen offset:0 // G -> Reg 0_0_1_0
v_mfma_f32_32x32x2f32 a[64+0:79+0], v[vgprValuA_X0_I0+0+0+0+1], v[vgprValuB_X0_I0+0+0+0], a[64:79]
 // Ci += Ai*Br
/*  mfmaIndex:2  */
/* localReadsVacancy: latencyLeft 13 */
_buffer_load_b64 v[vgprG2LA+4:vgprG2LA+4+1], v[vgprGlobalReadOffsetA+0], s[sgprSrdA:sgprSrdA+3], s[sgprScalarGlobalReadOffsetA+1], offen offset:0 // G -> Reg 0_0_2_0
v_mfma_f32_32x32x2f32 a[0+0:15+0], v43, v[vgprValuB_X0_I0+0+0+0+1], a[0:15]
 // Cr += -Ai*Bi
/*  mfmaIndex:3  */
/* localReadsVacancy: latencyLeft 13 */
_buffer_load_b64 v[vgprG2LA+6:vgprG2LA+6+1], v[vgprGlobalReadOffsetA+0], s[sgprSrdA:sgprSrdA+3], s[sgprScalarGlobalReadOffsetA+2], offen offset:0 // G -> Reg 0_0_3_0
v_mfma_f32_32x32x2f32 a[64+0:79+0], v[vgprValuA_X0_I0+0+0+0], v[vgprValuB_X0_I0+0+0+0+1], a[64:79]
 // Ci += Ar*Bi
/*  mfmaIndex:4  */
/* localReadsVacancy: latencyLeft 13 */
_buffer_load_b64 v[vgprG2LB+0:vgprG2LB+0+1], v[vgprGlobalReadOffsetB+0], s[sgprSrdB:sgprSrdB+3], 0, offen offset:0 // G -> Reg 0_0_0_0
v_mfma_f32_32x32x2f32 a[16+0:31+0], v[vgprValuA_X0_I0+0+0+0], v[vgprValuB_X0_I0+2+0+0], a[16:31]
 // Cr += Ar*Br
/*  mfmaIndex:5  */
/* localReadsVacancy: latencyLeft 13 */
_buffer_load_b64 v[vgprG2LB+2:vgprG2LB+2+1], v[vgprGlobalReadOffsetB+0], s[sgprSrdB:sgprSrdB+3], s[sgprScalarGlobalReadOffsetB+0], offen offset:0 // G -> Reg 0_0_1_0
v_mfma_f32_32x32x2f32 a[80+0:95+0], v[vgprValuA_X0_I0+0+0+0+1], v[vgprValuB_X0_I0+2+0+0], a[80:95]
 // Ci += Ai*Br
/*  mfmaIndex:6  */
/* localReadsVacancy: latencyLeft 13 */
_buffer_load_b64 v[vgprG2LB+4:vgprG2LB+4+1], v[vgprGlobalReadOffsetB+0], s[sgprSrdB:sgprSrdB+3], s[sgprScalarGlobalReadOffsetB+1], offen offset:0 // G -> Reg 0_0_2_0
v_mfma_f32_32x32x2f32 a[16+0:31+0], v43, v[vgprValuB_X0_I0+2+0+0+1], a[16:31]
 // Cr += -Ai*Bi
/*  mfmaIndex:7  */
/* localReadsVacancy: latencyLeft 13 */
_buffer_load_b64 v[vgprG2LB+6:vgprG2LB+6+1], v[vgprGlobalReadOffsetB+0], s[sgprSrdB:sgprSrdB+3], s[sgprScalarGlobalReadOffsetB+2], offen offset:0 // G -> Reg 0_0_3_0
v_mfma_f32_32x32x2f32 a[80+0:95+0], v[vgprValuA_X0_I0+0+0+0], v[vgprValuB_X0_I0+2+0+0+1], a[80:95]
 // Ci += Ar*Bi
/*  mfmaIndex:8  */
/* localReadsVacancy: latencyLeft 13 */

/* global read inc A loopL */
s_cmp_eq_u32 s[sgprLoopCounterL], s[sgprStaggerUIter] // Is this the wrapIter?
s_cselect_b32 s66, s[sgprWrapUA+0], s[sgprGlobalReadIncsA+0] // incLower <- ?
s_cselect_b32 s67, s[sgprWrapUA+1], 0              // incUpper <- ?
s_add_u32 s[sgprSrdA+0], s[sgprSrdA+0], s66        // gra SRD += inc(lower)
s_addc_u32  s[sgprSrdA+1], s[sgprSrdA+1], s67      // gra SRD += inc(upper)
s_sub_u32 s[sgprShadowLimitA+0], s[sgprShadowLimitA+0], s66 // limit -= inc)
s_subb_u32 s[sgprShadowLimitA+1], s[sgprShadowLimitA+1], s67 // limit -= inc)
v_mfma_f32_32x32x2f32 a[32+0:47+0], v[vgprValuA_X0_I0+0+0+0], v[vgprValuB_X0_I0+4+0+0], a[32:47]
 // Cr += Ar*Br
/*  mfmaIndex:9  */
/* localReadsVacancy: latencyLeft 13 */
s_cmp_eq_u32 s[sgprShadowLimitA+1], 0              // are we within 2^32?
s_cselect_b32 s[sgprSrdA+2], s[sgprShadowLimitA+0], BufferLimitA // Move shadow to real if we are within 2^32

/* global read inc B loopL */
s_cmp_eq_u32 s[sgprLoopCounterL], s[sgprStaggerUIter] // Is this the wrapIter?
s_cselect_b32 s66, s[sgprWrapUB+0], s[sgprGlobalReadIncsB+0] // incLower <- ?
s_cselect_b32 s67, s[sgprWrapUB+1], 0              // incUpper <- ?
s_add_u32 s[sgprSrdB+0], s[sgprSrdB+0], s66        // gra SRD += inc(lower)
s_addc_u32  s[sgprSrdB+1], s[sgprSrdB+1], s67      // gra SRD += inc(upper)
v_mfma_f32_32x32x2f32 a[96+0:111+0], v[vgprValuA_X0_I0+0+0+0+1], v[vgprValuB_X0_I0+4+0+0], a[96:111]
 // Ci += Ai*Br
/*  mfmaIndex:10  */
/* localReadsVacancy: latencyLeft 13 */
s_sub_u32 s[sgprShadowLimitB+0], s[sgprShadowLimitB+0], s66 // limit -= inc)
s_subb_u32 s[sgprShadowLimitB+1], s[sgprShadowLimitB+1], s67 // limit -= inc)
s_cmp_eq_u32 s[sgprShadowLimitB+1], 0              // are we within 2^32?
s_cselect_b32 s[sgprSrdB+2], s[sgprShadowLimitB+0], BufferLimitB // Move shadow to real if we are within 2^32
v_mfma_f32_32x32x2f32 a[32+0:47+0], v43, v[vgprValuB_X0_I0+4+0+0+1], a[32:47]
 // Cr += -Ai*Bi
/*  mfmaIndex:11  */
/* localReadsVacancy: latencyLeft 13 */
v_mfma_f32_32x32x2f32 a[96+0:111+0], v[vgprValuA_X0_I0+0+0+0], v[vgprValuB_X0_I0+4+0+0+1], a[96:111]
 // Ci += Ar*Bi
/*  mfmaIndex:12  */
/* localReadsVacancy: latencyLeft 13 */
v_mfma_f32_32x32x2f32 a[48+0:63+0], v[vgprValuA_X0_I0+0+0+0], v[vgprValuB_X0_I0+6+0+0], a[48:63]
 // Cr += Ar*Br
/*  mfmaIndex:13  */
/* localReadsVacancy: latencyLeft 13 */
v_mfma_f32_32x32x2f32 a[112+0:127+0], v[vgprValuA_X0_I0+0+0+0+1], v[vgprValuB_X0_I0+6+0+0], a[112:127]
 // Ci += Ai*Br
/*  mfmaIndex:14  */
/* localReadsVacancy: latencyLeft 13 */
v_mfma_f32_32x32x2f32 a[48+0:63+0], v43, v[vgprValuB_X0_I0+6+0+0+1], a[48:63]
 // Cr += -Ai*Bi
/*  mfmaIndex:15  */
/* localReadsVacancy: latencyLeft 13 */
v_mfma_f32_32x32x2f32 a[112+0:127+0], v[vgprValuA_X0_I0+0+0+0], v[vgprValuB_X0_I0+6+0+0+1], a[112:127]
 // Ci += Ar*Bi
/* numPrefetchIter=0 */
/* dataAtIterA=-1 numReadsIterA=1 skipReadsIterA=1 readsPerIterA=1 */
/* dataAtIterB=-1 numReadsIterB=1 skipReadsIterB=1 readsPerIterB=4 */


/* iter 1 */

/*  grEndMfmaIndex:7, lwStartMfmaIndex:52, lwEndMfmaIndex:59  */
/*  numMfmaForLR:2, barrierMfmaIndex:61 */
/*  mfmaIndex:16  */
_ds_load_b64 v[vgprValuA_X0_I0+0:vgprValuA_X0_I0+0+1], v[vgprLocalReadAddrA] offset:4160 // L -> Reg lro=520 swapByteOffset=0 ti=128 vIdx=0 rIdx=0 oIdx=0 buffer=0 iui=0
_ds_load_b64 v[vgprValuB_X0_I0+0:vgprValuB_X0_I0+0+1], v[vgprLocalReadAddrB] offset:4160 // L -> Reg lro=520 swapByteOffset=0 ti=32 vIdx=0 rIdx=0 oIdx=0 buffer=0 iui=0
_ds_load_b64 v[vgprValuB_X0_I0+2:vgprValuB_X0_I0+2+1], v[vgprLocalReadAddrB] offset:4416 // L -> Reg lro=520 swapByteOffset=0 ti=32 vIdx=1 rIdx=0 oIdx=0 buffer=0 iui=0
	;; [unrolled: 1-line block ×4, first 2 shown]
/* localReadsVacancy: latencyLeft 3 */
s_waitcnt lgkmcnt(5)                               // lgkmcnt=0 vmcnt=-1wait for prior local read local write old=0, new=5 newLW=0 newLR=5
v_add_f32 v43, -v[vgprValuA_X1_I0+0+0+0+1], 0      // Ai=-Ai
v_mfma_f32_32x32x2f32 a[0+0:15+0], v[vgprValuA_X1_I0+0+0+0], v[vgprValuB_X1_I0+0+0+0], a[0:15]
 // Cr += Ar*Br
/*  mfmaIndex:17  */
/* localReadsVacancy: latencyLeft 13 */
v_mfma_f32_32x32x2f32 a[64+0:79+0], v[vgprValuA_X1_I0+0+0+0+1], v[vgprValuB_X1_I0+0+0+0], a[64:79]
 // Ci += Ai*Br
/*  mfmaIndex:18  */
/* localReadsVacancy: latencyLeft 13 */
v_mfma_f32_32x32x2f32 a[0+0:15+0], v43, v[vgprValuB_X1_I0+0+0+0+1], a[0:15]
 // Cr += -Ai*Bi
/*  mfmaIndex:19  */
/* localReadsVacancy: latencyLeft 13 */
v_mfma_f32_32x32x2f32 a[64+0:79+0], v[vgprValuA_X1_I0+0+0+0], v[vgprValuB_X1_I0+0+0+0+1], a[64:79]
 // Ci += Ar*Bi
/*  mfmaIndex:20  */
/* localReadsVacancy: latencyLeft 13 */
v_mfma_f32_32x32x2f32 a[16+0:31+0], v[vgprValuA_X1_I0+0+0+0], v[vgprValuB_X1_I0+2+0+0], a[16:31]
 // Cr += Ar*Br
/*  mfmaIndex:21  */
/* localReadsVacancy: latencyLeft 13 */
v_mfma_f32_32x32x2f32 a[80+0:95+0], v[vgprValuA_X1_I0+0+0+0+1], v[vgprValuB_X1_I0+2+0+0], a[80:95]
 // Ci += Ai*Br
/*  mfmaIndex:22  */
/* localReadsVacancy: latencyLeft 13 */
v_mfma_f32_32x32x2f32 a[16+0:31+0], v43, v[vgprValuB_X1_I0+2+0+0+1], a[16:31]
 // Cr += -Ai*Bi
/*  mfmaIndex:23  */
/* localReadsVacancy: latencyLeft 13 */
v_mfma_f32_32x32x2f32 a[80+0:95+0], v[vgprValuA_X1_I0+0+0+0], v[vgprValuB_X1_I0+2+0+0+1], a[80:95]
 // Ci += Ar*Bi
/*  mfmaIndex:24  */
/* localReadsVacancy: latencyLeft 13 */
	;; [unrolled: 16-line block ×3, first 2 shown]
v_mfma_f32_32x32x2f32 a[48+0:63+0], v[vgprValuA_X1_I0+0+0+0], v[vgprValuB_X1_I0+6+0+0], a[48:63]
 // Cr += Ar*Br
/*  mfmaIndex:29  */
/* localReadsVacancy: latencyLeft 13 */
v_mfma_f32_32x32x2f32 a[112+0:127+0], v[vgprValuA_X1_I0+0+0+0+1], v[vgprValuB_X1_I0+6+0+0], a[112:127]
 // Ci += Ai*Br
/*  mfmaIndex:30  */
/* localReadsVacancy: latencyLeft 13 */
v_mfma_f32_32x32x2f32 a[48+0:63+0], v43, v[vgprValuB_X1_I0+6+0+0+1], a[48:63]
 // Cr += -Ai*Bi
/*  mfmaIndex:31  */
/* localReadsVacancy: latencyLeft 13 */
v_mfma_f32_32x32x2f32 a[112+0:127+0], v[vgprValuA_X1_I0+0+0+0], v[vgprValuB_X1_I0+6+0+0+1], a[112:127]
 // Ci += Ar*Bi
/* numPrefetchIter=0 */
/* dataAtIterA=0 numReadsIterA=2 skipReadsIterA=1 readsPerIterA=1 */
/* dataAtIterB=0 numReadsIterB=2 skipReadsIterB=1 readsPerIterB=4 */


/* iter 2 (reset local read pointers iteration)  (swap local read pointers iteration)  */

/*  grEndMfmaIndex:7, lwStartMfmaIndex:52, lwEndMfmaIndex:59  */
/*  numMfmaForLR:2, barrierMfmaIndex:61 */
/*  mfmaIndex:32  */
_ds_load_b64 v[vgprValuA_X1_I0+0:vgprValuA_X1_I0+0+1], v[vgprLocalReadAddrA] offset:6240 // L -> Reg lro=780 swapByteOffset=0 ti=128 vIdx=0 rIdx=0 oIdx=0 buffer=1 iui=0
_ds_load_b64 v[vgprValuB_X1_I0+0:vgprValuB_X1_I0+0+1], v[vgprLocalReadAddrB] offset:6240 // L -> Reg lro=780 swapByteOffset=0 ti=32 vIdx=0 rIdx=0 oIdx=0 buffer=1 iui=0
_ds_load_b64 v[vgprValuB_X1_I0+2:vgprValuB_X1_I0+2+1], v[vgprLocalReadAddrB] offset:6496 // L -> Reg lro=780 swapByteOffset=0 ti=32 vIdx=1 rIdx=0 oIdx=0 buffer=1 iui=0
	;; [unrolled: 1-line block ×4, first 2 shown]
/* localReadsVacancy: latencyLeft 3 */
s_waitcnt lgkmcnt(5)                               // lgkmcnt=0 vmcnt=-1wait for prior local read local write old=0, new=5 newLW=0 newLR=5
v_add_f32 v43, -v[vgprValuA_X0_I0+0+0+0+1], 0      // Ai=-Ai
v_mfma_f32_32x32x2f32 a[0+0:15+0], v[vgprValuA_X0_I0+0+0+0], v[vgprValuB_X0_I0+0+0+0], a[0:15]
 // Cr += Ar*Br
/*  mfmaIndex:33  */
/* localReadsVacancy: latencyLeft 13 */
v_mfma_f32_32x32x2f32 a[64+0:79+0], v[vgprValuA_X0_I0+0+0+0+1], v[vgprValuB_X0_I0+0+0+0], a[64:79]
 // Ci += Ai*Br
/*  mfmaIndex:34  */
/* localReadsVacancy: latencyLeft 13 */
v_mfma_f32_32x32x2f32 a[0+0:15+0], v43, v[vgprValuB_X0_I0+0+0+0+1], a[0:15]
 // Cr += -Ai*Bi
/*  mfmaIndex:35  */
/* localReadsVacancy: latencyLeft 13 */
v_mfma_f32_32x32x2f32 a[64+0:79+0], v[vgprValuA_X0_I0+0+0+0], v[vgprValuB_X0_I0+0+0+0+1], a[64:79]
 // Ci += Ar*Bi
/*  mfmaIndex:36  */
/* localReadsVacancy: latencyLeft 13 */
v_mfma_f32_32x32x2f32 a[16+0:31+0], v[vgprValuA_X0_I0+0+0+0], v[vgprValuB_X0_I0+2+0+0], a[16:31]
 // Cr += Ar*Br
/*  mfmaIndex:37  */
/* localReadsVacancy: latencyLeft 13 */
v_mfma_f32_32x32x2f32 a[80+0:95+0], v[vgprValuA_X0_I0+0+0+0+1], v[vgprValuB_X0_I0+2+0+0], a[80:95]
 // Ci += Ai*Br
/*  mfmaIndex:38  */
/* localReadsVacancy: latencyLeft 13 */
v_mfma_f32_32x32x2f32 a[16+0:31+0], v43, v[vgprValuB_X0_I0+2+0+0+1], a[16:31]
 // Cr += -Ai*Bi
/*  mfmaIndex:39  */
/* localReadsVacancy: latencyLeft 13 */
v_mfma_f32_32x32x2f32 a[80+0:95+0], v[vgprValuA_X0_I0+0+0+0], v[vgprValuB_X0_I0+2+0+0+1], a[80:95]
 // Ci += Ar*Bi
/*  mfmaIndex:40  */
/* localReadsVacancy: latencyLeft 13 */
	;; [unrolled: 16-line block ×3, first 2 shown]
v_mfma_f32_32x32x2f32 a[48+0:63+0], v[vgprValuA_X0_I0+0+0+0], v[vgprValuB_X0_I0+6+0+0], a[48:63]
 // Cr += Ar*Br
/*  mfmaIndex:45  */
/* localReadsVacancy: latencyLeft 13 */
v_mfma_f32_32x32x2f32 a[112+0:127+0], v[vgprValuA_X0_I0+0+0+0+1], v[vgprValuB_X0_I0+6+0+0], a[112:127]
 // Ci += Ai*Br
/*  mfmaIndex:46  */
/* localReadsVacancy: latencyLeft 13 */
v_mfma_f32_32x32x2f32 a[48+0:63+0], v43, v[vgprValuB_X0_I0+6+0+0+1], a[48:63]
 // Cr += -Ai*Bi
/*  mfmaIndex:47  */
/* localReadsVacancy: latencyLeft 13 */

/* local read swap offsets a */

/* local read swap internal offset -> 32768 */

/* local read swap offsets b */

/* local read swap internal offset -> 32768 */

/* local read init pointers a */

/* localReadInitPointers */

/* local read init pointers b */

/* localReadInitPointers */
v_mfma_f32_32x32x2f32 a[112+0:127+0], v[vgprValuA_X0_I0+0+0+0], v[vgprValuB_X0_I0+6+0+0+1], a[112:127]
 // Ci += Ar*Bi
/* numPrefetchIter=0 */
/* dataAtIterA=1 numReadsIterA=3 skipReadsIterA=1 readsPerIterA=1 */
/* dataAtIterB=1 numReadsIterB=3 skipReadsIterB=1 readsPerIterB=4 */


/* iter 3 (swap and reset local write pointers iteration)  */

/*  grEndMfmaIndex:7, lwStartMfmaIndex:52, lwEndMfmaIndex:59  */
/*  numMfmaForLR:2, barrierMfmaIndex:61 */
/*  mfmaIndex:48  */
s_waitcnt lgkmcnt(0)                               // lgkmcnt=0 vmcnt=-1wait for prior local read local write old=0, new=0 newLW=0 newLR=0
v_add_f32 v43, -v[vgprValuA_X1_I0+0+0+0+1], 0      // Ai=-Ai
v_mfma_f32_32x32x2f32 a[0+0:15+0], v[vgprValuA_X1_I0+0+0+0], v[vgprValuB_X1_I0+0+0+0], a[0:15]
 // Cr += Ar*Br
/*  mfmaIndex:49  */
v_mfma_f32_32x32x2f32 a[64+0:79+0], v[vgprValuA_X1_I0+0+0+0+1], v[vgprValuB_X1_I0+0+0+0], a[64:79]
 // Ci += Ai*Br
/*  mfmaIndex:50  */
v_mfma_f32_32x32x2f32 a[0+0:15+0], v43, v[vgprValuB_X1_I0+0+0+0+1], a[0:15]
 // Cr += -Ai*Bi
/*  mfmaIndex:51  */
v_mfma_f32_32x32x2f32 a[64+0:79+0], v[vgprValuA_X1_I0+0+0+0], v[vgprValuB_X1_I0+0+0+0+1], a[64:79]
 // Ci += Ar*Bi
/*  mfmaIndex:52  */
/* sched write - iter 3 writesPerItem=1 */
s_waitcnt vmcnt(0)                                 // lgkmcnt=-1 vmcnt=0wait for global read before writing to local
_ds_store_b64 v[vgprLocalWriteAddrA], v[vgprG2LA+0:vgprG2LA+0+1] offset:32768 // lwoA_0_0_0_0 = (0*LSCA)*(MT0I+PAD) + (0*LSPA) = 32768
v_mfma_f32_32x32x2f32 a[16+0:31+0], v[vgprValuA_X1_I0+0+0+0], v[vgprValuB_X1_I0+2+0+0], a[16:31]
 // Cr += Ar*Br
/*  mfmaIndex:53  */
/* sched write - iter 3 writesPerItem=1 */
s_waitcnt vmcnt(0)                                 // lgkmcnt=-1 vmcnt=0wait for global read before writing to local
_ds_store_b64 v[vgprLocalWriteAddrA], v[vgprG2LA+2:vgprG2LA+2+1] offset:32832 // lwoA_0_0_1_0 = (0*LSCA)*(MT0I+PAD) + (1*LSPA) = 32832
v_mfma_f32_32x32x2f32 a[80+0:95+0], v[vgprValuA_X1_I0+0+0+0+1], v[vgprValuB_X1_I0+2+0+0], a[80:95]
 // Ci += Ai*Br
/*  mfmaIndex:54  */
/* sched write - iter 3 writesPerItem=1 */
s_waitcnt vmcnt(0)                                 // lgkmcnt=-1 vmcnt=0wait for global read before writing to local
_ds_store_b64 v[vgprLocalWriteAddrA], v[vgprG2LA+4:vgprG2LA+4+1] offset:32896 // lwoA_0_0_2_0 = (0*LSCA)*(MT0I+PAD) + (2*LSPA) = 32896
v_mfma_f32_32x32x2f32 a[16+0:31+0], v43, v[vgprValuB_X1_I0+2+0+0+1], a[16:31]
 // Cr += -Ai*Bi
/*  mfmaIndex:55  */
/* sched write - iter 3 writesPerItem=1 */
s_waitcnt vmcnt(0)                                 // lgkmcnt=-1 vmcnt=0wait for global read before writing to local
_ds_store_b64 v[vgprLocalWriteAddrA], v[vgprG2LA+6:vgprG2LA+6+1] offset:32960 // lwoA_0_0_3_0 = (0*LSCA)*(MT0I+PAD) + (3*LSPA) = 32960
v_mfma_f32_32x32x2f32 a[80+0:95+0], v[vgprValuA_X1_I0+0+0+0], v[vgprValuB_X1_I0+2+0+0+1], a[80:95]
 // Ci += Ar*Bi
/*  mfmaIndex:56  */
/* sched write - iter 3 writesPerItem=1 */
s_waitcnt vmcnt(0)                                 // lgkmcnt=-1 vmcnt=0wait for global read before writing to local
_ds_store_b64 v[vgprLocalWriteAddrB], v[vgprG2LB+0:vgprG2LB+0+1] offset:32768 // lwoB_0_0_0_0 = (0*LSCB)*(MT1J+PAD) + (0*LSPB) = 32768
v_mfma_f32_32x32x2f32 a[32+0:47+0], v[vgprValuA_X1_I0+0+0+0], v[vgprValuB_X1_I0+4+0+0], a[32:47]
 // Cr += Ar*Br
/*  mfmaIndex:57  */
/* sched write - iter 3 writesPerItem=1 */
s_waitcnt vmcnt(0)                                 // lgkmcnt=-1 vmcnt=0wait for global read before writing to local
_ds_store_b64 v[vgprLocalWriteAddrB], v[vgprG2LB+2:vgprG2LB+2+1] offset:32832 // lwoB_0_0_1_0 = (0*LSCB)*(MT1J+PAD) + (1*LSPB) = 32832
v_mfma_f32_32x32x2f32 a[96+0:111+0], v[vgprValuA_X1_I0+0+0+0+1], v[vgprValuB_X1_I0+4+0+0], a[96:111]
 // Ci += Ai*Br
/*  mfmaIndex:58  */
/* sched write - iter 3 writesPerItem=1 */
s_waitcnt vmcnt(0)                                 // lgkmcnt=-1 vmcnt=0wait for global read before writing to local
_ds_store_b64 v[vgprLocalWriteAddrB], v[vgprG2LB+4:vgprG2LB+4+1] offset:32896 // lwoB_0_0_2_0 = (0*LSCB)*(MT1J+PAD) + (2*LSPB) = 32896
v_mfma_f32_32x32x2f32 a[32+0:47+0], v43, v[vgprValuB_X1_I0+4+0+0+1], a[32:47]
 // Cr += -Ai*Bi
/*  mfmaIndex:59  */
/* sched write - iter 3 writesPerItem=1 */
s_waitcnt vmcnt(0)                                 // lgkmcnt=-1 vmcnt=0wait for global read before writing to local
_ds_store_b64 v[vgprLocalWriteAddrB], v[vgprG2LB+6:vgprG2LB+6+1] offset:32960 // lwoB_0_0_3_0 = (0*LSCB)*(MT1J+PAD) + (3*LSPB) = 32960

/* local write swap offsets a */

/* (EPS=1) local write swap internal offset -> 0 */

/* local write swap offsets b */

/* (EPS=1) local write swap internal offset -> 0 */
v_mfma_f32_32x32x2f32 a[96+0:111+0], v[vgprValuA_X1_I0+0+0+0], v[vgprValuB_X1_I0+4+0+0+1], a[96:111]
 // Ci += Ar*Bi
/*  mfmaIndex:60  */
v_mfma_f32_32x32x2f32 a[48+0:63+0], v[vgprValuA_X1_I0+0+0+0], v[vgprValuB_X1_I0+6+0+0], a[48:63]
 // Cr += Ar*Br
/*  mfmaIndex:61  */
s_waitcnt lgkmcnt(0)                               // lgkmcnt=0 vmcnt=-13wait for local write
s_waitcnt lgkmcnt(0) & vmcnt(0)                    // force waitcnt0
s_barrier //
v_mfma_f32_32x32x2f32 a[112+0:127+0], v[vgprValuA_X1_I0+0+0+0+1], v[vgprValuB_X1_I0+6+0+0], a[112:127]
 // Ci += Ai*Br
/*  mfmaIndex:62  */
_ds_load_b64 v[vgprValuA_X0_I0+0:vgprValuA_X0_I0+0+1], v[vgprLocalReadAddrA] offset:32768 // L -> Reg lro=0 swapByteOffset=32768 ti=128 vIdx=0 rIdx=0 oIdx=0 buffer=0 iui=0
_ds_load_b64 v[vgprValuB_X0_I0+0:vgprValuB_X0_I0+0+1], v[vgprLocalReadAddrB] offset:32768 // L -> Reg lro=0 swapByteOffset=32768 ti=32 vIdx=0 rIdx=0 oIdx=0 buffer=0 iui=0
_ds_load_b64 v[vgprValuB_X0_I0+2:vgprValuB_X0_I0+2+1], v[vgprLocalReadAddrB] offset:33024 // L -> Reg lro=0 swapByteOffset=32768 ti=32 vIdx=1 rIdx=0 oIdx=0 buffer=0 iui=0
	;; [unrolled: 1-line block ×4, first 2 shown]
v_mfma_f32_32x32x2f32 a[48+0:63+0], v43, v[vgprValuB_X1_I0+6+0+0+1], a[48:63]
 // Cr += -Ai*Bi
/*  mfmaIndex:63  */
v_mfma_f32_32x32x2f32 a[112+0:127+0], v[vgprValuA_X1_I0+0+0+0], v[vgprValuB_X1_I0+6+0+0+1], a[112:127]
 // Ci += Ar*Bi
/* numPrefetchIter=1 */
/* dataAtIterA=2 numReadsIterA=3 skipReadsIterA=1 readsPerIterA=1 */
/* dataAtIterB=2 numReadsIterB=3 skipReadsIterB=1 readsPerIterB=4 */


/******************************************/
/* Unrolled Loop - End 1/2                */
/******************************************/


/* closeLoop loopL finalLoop=0 tailLoop=0 */
s_sub_u32 s[sgprLoopCounterL], s[sgprLoopCounterL], 1 // dec counterL
s_cmp_eq_i32 s[sgprLoopCounterL], 0x1              // counterL==1
s_cbranch_scc1 LoopEndL_oddexit_3                  // exit LoopL


/******************************************/
/* Unrolled Loop 2/2 - Begin              */
/******************************************/

label_0014: // LoopCopy2 


/* Begin Each Unroll: Check VGPR.checkin for INT8 LW */


	;; [unrolled: 1-line block ×3, first 2 shown]
/* iter 0 */

/*  grEndMfmaIndex:7, lwStartMfmaIndex:52, lwEndMfmaIndex:59  */
/*  numMfmaForLR:2, barrierMfmaIndex:61 */
/*  mfmaIndex:0  */
_buffer_load_b64 v[vgprG2LA+0:vgprG2LA+0+1], v[vgprGlobalReadOffsetA+0], s[sgprSrdA:sgprSrdA+3], 0, offen offset:0 // G -> Reg 0_0_0_0
s_waitcnt lgkmcnt(0)                               // lgkmcnt=0 vmcnt=-1wait for prior local read local write old=0, new=0 newLW=0 newLR=0
v_add_f32 v43, -v[vgprValuA_X0_I0+0+0+0+1], 0      // Ai=-Ai
v_mfma_f32_32x32x2f32 a[0+0:15+0], v[vgprValuA_X0_I0+0+0+0], v[vgprValuB_X0_I0+0+0+0], a[0:15]
 // Cr += Ar*Br
/*  mfmaIndex:1  */
_ds_load_b64 v[vgprValuA_X1_I0+0:vgprValuA_X1_I0+0+1], v[vgprLocalReadAddrA] offset:34848 // L -> Reg lro=260 swapByteOffset=32768 ti=128 vIdx=0 rIdx=0 oIdx=0 buffer=1 iui=0
_ds_load_b64 v[vgprValuB_X1_I0+0:vgprValuB_X1_I0+0+1], v[vgprLocalReadAddrB] offset:34848 // L -> Reg lro=260 swapByteOffset=32768 ti=32 vIdx=0 rIdx=0 oIdx=0 buffer=1 iui=0
_ds_load_b64 v[vgprValuB_X1_I0+2:vgprValuB_X1_I0+2+1], v[vgprLocalReadAddrB] offset:35104 // L -> Reg lro=260 swapByteOffset=32768 ti=32 vIdx=1 rIdx=0 oIdx=0 buffer=1 iui=0
	;; [unrolled: 1-line block ×4, first 2 shown]
/* localReadsVacancy: latencyLeft 3 */
_buffer_load_b64 v[vgprG2LA+2:vgprG2LA+2+1], v[vgprGlobalReadOffsetA+0], s[sgprSrdA:sgprSrdA+3], s[sgprScalarGlobalReadOffsetA+0], offen offset:0 // G -> Reg 0_0_1_0
v_mfma_f32_32x32x2f32 a[64+0:79+0], v[vgprValuA_X0_I0+0+0+0+1], v[vgprValuB_X0_I0+0+0+0], a[64:79]
 // Ci += Ai*Br
/*  mfmaIndex:2  */
/* localReadsVacancy: latencyLeft 13 */
_buffer_load_b64 v[vgprG2LA+4:vgprG2LA+4+1], v[vgprGlobalReadOffsetA+0], s[sgprSrdA:sgprSrdA+3], s[sgprScalarGlobalReadOffsetA+1], offen offset:0 // G -> Reg 0_0_2_0
v_mfma_f32_32x32x2f32 a[0+0:15+0], v43, v[vgprValuB_X0_I0+0+0+0+1], a[0:15]
 // Cr += -Ai*Bi
/*  mfmaIndex:3  */
/* localReadsVacancy: latencyLeft 13 */
_buffer_load_b64 v[vgprG2LA+6:vgprG2LA+6+1], v[vgprGlobalReadOffsetA+0], s[sgprSrdA:sgprSrdA+3], s[sgprScalarGlobalReadOffsetA+2], offen offset:0 // G -> Reg 0_0_3_0
v_mfma_f32_32x32x2f32 a[64+0:79+0], v[vgprValuA_X0_I0+0+0+0], v[vgprValuB_X0_I0+0+0+0+1], a[64:79]
 // Ci += Ar*Bi
/*  mfmaIndex:4  */
/* localReadsVacancy: latencyLeft 13 */
_buffer_load_b64 v[vgprG2LB+0:vgprG2LB+0+1], v[vgprGlobalReadOffsetB+0], s[sgprSrdB:sgprSrdB+3], 0, offen offset:0 // G -> Reg 0_0_0_0
v_mfma_f32_32x32x2f32 a[16+0:31+0], v[vgprValuA_X0_I0+0+0+0], v[vgprValuB_X0_I0+2+0+0], a[16:31]
 // Cr += Ar*Br
/*  mfmaIndex:5  */
/* localReadsVacancy: latencyLeft 13 */
_buffer_load_b64 v[vgprG2LB+2:vgprG2LB+2+1], v[vgprGlobalReadOffsetB+0], s[sgprSrdB:sgprSrdB+3], s[sgprScalarGlobalReadOffsetB+0], offen offset:0 // G -> Reg 0_0_1_0
v_mfma_f32_32x32x2f32 a[80+0:95+0], v[vgprValuA_X0_I0+0+0+0+1], v[vgprValuB_X0_I0+2+0+0], a[80:95]
 // Ci += Ai*Br
/*  mfmaIndex:6  */
/* localReadsVacancy: latencyLeft 13 */
_buffer_load_b64 v[vgprG2LB+4:vgprG2LB+4+1], v[vgprGlobalReadOffsetB+0], s[sgprSrdB:sgprSrdB+3], s[sgprScalarGlobalReadOffsetB+1], offen offset:0 // G -> Reg 0_0_2_0
v_mfma_f32_32x32x2f32 a[16+0:31+0], v43, v[vgprValuB_X0_I0+2+0+0+1], a[16:31]
 // Cr += -Ai*Bi
/*  mfmaIndex:7  */
/* localReadsVacancy: latencyLeft 13 */
_buffer_load_b64 v[vgprG2LB+6:vgprG2LB+6+1], v[vgprGlobalReadOffsetB+0], s[sgprSrdB:sgprSrdB+3], s[sgprScalarGlobalReadOffsetB+2], offen offset:0 // G -> Reg 0_0_3_0
v_mfma_f32_32x32x2f32 a[80+0:95+0], v[vgprValuA_X0_I0+0+0+0], v[vgprValuB_X0_I0+2+0+0+1], a[80:95]
 // Ci += Ar*Bi
/*  mfmaIndex:8  */
/* localReadsVacancy: latencyLeft 13 */

/* global read inc A loopL */
s_cmp_eq_u32 s[sgprLoopCounterL], s[sgprStaggerUIter] // Is this the wrapIter?
s_cselect_b32 s66, s[sgprWrapUA+0], s[sgprGlobalReadIncsA+0] // incLower <- ?
s_cselect_b32 s67, s[sgprWrapUA+1], 0              // incUpper <- ?
s_add_u32 s[sgprSrdA+0], s[sgprSrdA+0], s66        // gra SRD += inc(lower)
s_addc_u32  s[sgprSrdA+1], s[sgprSrdA+1], s67      // gra SRD += inc(upper)
s_sub_u32 s[sgprShadowLimitA+0], s[sgprShadowLimitA+0], s66 // limit -= inc)
s_subb_u32 s[sgprShadowLimitA+1], s[sgprShadowLimitA+1], s67 // limit -= inc)
v_mfma_f32_32x32x2f32 a[32+0:47+0], v[vgprValuA_X0_I0+0+0+0], v[vgprValuB_X0_I0+4+0+0], a[32:47]
 // Cr += Ar*Br
/*  mfmaIndex:9  */
/* localReadsVacancy: latencyLeft 13 */
s_cmp_eq_u32 s[sgprShadowLimitA+1], 0              // are we within 2^32?
s_cselect_b32 s[sgprSrdA+2], s[sgprShadowLimitA+0], BufferLimitA // Move shadow to real if we are within 2^32

/* global read inc B loopL */
s_cmp_eq_u32 s[sgprLoopCounterL], s[sgprStaggerUIter] // Is this the wrapIter?
s_cselect_b32 s66, s[sgprWrapUB+0], s[sgprGlobalReadIncsB+0] // incLower <- ?
s_cselect_b32 s67, s[sgprWrapUB+1], 0              // incUpper <- ?
s_add_u32 s[sgprSrdB+0], s[sgprSrdB+0], s66        // gra SRD += inc(lower)
s_addc_u32  s[sgprSrdB+1], s[sgprSrdB+1], s67      // gra SRD += inc(upper)
v_mfma_f32_32x32x2f32 a[96+0:111+0], v[vgprValuA_X0_I0+0+0+0+1], v[vgprValuB_X0_I0+4+0+0], a[96:111]
 // Ci += Ai*Br
/*  mfmaIndex:10  */
/* localReadsVacancy: latencyLeft 13 */
s_sub_u32 s[sgprShadowLimitB+0], s[sgprShadowLimitB+0], s66 // limit -= inc)
s_subb_u32 s[sgprShadowLimitB+1], s[sgprShadowLimitB+1], s67 // limit -= inc)
s_cmp_eq_u32 s[sgprShadowLimitB+1], 0              // are we within 2^32?
s_cselect_b32 s[sgprSrdB+2], s[sgprShadowLimitB+0], BufferLimitB // Move shadow to real if we are within 2^32
v_mfma_f32_32x32x2f32 a[32+0:47+0], v43, v[vgprValuB_X0_I0+4+0+0+1], a[32:47]
 // Cr += -Ai*Bi
/*  mfmaIndex:11  */
/* localReadsVacancy: latencyLeft 13 */
v_mfma_f32_32x32x2f32 a[96+0:111+0], v[vgprValuA_X0_I0+0+0+0], v[vgprValuB_X0_I0+4+0+0+1], a[96:111]
 // Ci += Ar*Bi
/*  mfmaIndex:12  */
/* localReadsVacancy: latencyLeft 13 */
v_mfma_f32_32x32x2f32 a[48+0:63+0], v[vgprValuA_X0_I0+0+0+0], v[vgprValuB_X0_I0+6+0+0], a[48:63]
 // Cr += Ar*Br
/*  mfmaIndex:13  */
/* localReadsVacancy: latencyLeft 13 */
v_mfma_f32_32x32x2f32 a[112+0:127+0], v[vgprValuA_X0_I0+0+0+0+1], v[vgprValuB_X0_I0+6+0+0], a[112:127]
 // Ci += Ai*Br
/*  mfmaIndex:14  */
/* localReadsVacancy: latencyLeft 13 */
v_mfma_f32_32x32x2f32 a[48+0:63+0], v43, v[vgprValuB_X0_I0+6+0+0+1], a[48:63]
 // Cr += -Ai*Bi
/*  mfmaIndex:15  */
/* localReadsVacancy: latencyLeft 13 */
v_mfma_f32_32x32x2f32 a[112+0:127+0], v[vgprValuA_X0_I0+0+0+0], v[vgprValuB_X0_I0+6+0+0+1], a[112:127]
 // Ci += Ar*Bi
/* numPrefetchIter=0 */
/* dataAtIterA=-1 numReadsIterA=1 skipReadsIterA=1 readsPerIterA=1 */
/* dataAtIterB=-1 numReadsIterB=1 skipReadsIterB=1 readsPerIterB=4 */


/* iter 1 */

/*  grEndMfmaIndex:7, lwStartMfmaIndex:52, lwEndMfmaIndex:59  */
/*  numMfmaForLR:2, barrierMfmaIndex:61 */
/*  mfmaIndex:16  */
_ds_load_b64 v[vgprValuA_X0_I0+0:vgprValuA_X0_I0+0+1], v[vgprLocalReadAddrA] offset:36928 // L -> Reg lro=520 swapByteOffset=32768 ti=128 vIdx=0 rIdx=0 oIdx=0 buffer=0 iui=0
_ds_load_b64 v[vgprValuB_X0_I0+0:vgprValuB_X0_I0+0+1], v[vgprLocalReadAddrB] offset:36928 // L -> Reg lro=520 swapByteOffset=32768 ti=32 vIdx=0 rIdx=0 oIdx=0 buffer=0 iui=0
_ds_load_b64 v[vgprValuB_X0_I0+2:vgprValuB_X0_I0+2+1], v[vgprLocalReadAddrB] offset:37184 // L -> Reg lro=520 swapByteOffset=32768 ti=32 vIdx=1 rIdx=0 oIdx=0 buffer=0 iui=0
	;; [unrolled: 1-line block ×4, first 2 shown]
/* localReadsVacancy: latencyLeft 3 */
s_waitcnt lgkmcnt(5)                               // lgkmcnt=0 vmcnt=-1wait for prior local read local write old=0, new=5 newLW=0 newLR=5
v_add_f32 v43, -v[vgprValuA_X1_I0+0+0+0+1], 0      // Ai=-Ai
v_mfma_f32_32x32x2f32 a[0+0:15+0], v[vgprValuA_X1_I0+0+0+0], v[vgprValuB_X1_I0+0+0+0], a[0:15]
 // Cr += Ar*Br
/*  mfmaIndex:17  */
/* localReadsVacancy: latencyLeft 13 */
v_mfma_f32_32x32x2f32 a[64+0:79+0], v[vgprValuA_X1_I0+0+0+0+1], v[vgprValuB_X1_I0+0+0+0], a[64:79]
 // Ci += Ai*Br
/*  mfmaIndex:18  */
/* localReadsVacancy: latencyLeft 13 */
v_mfma_f32_32x32x2f32 a[0+0:15+0], v43, v[vgprValuB_X1_I0+0+0+0+1], a[0:15]
 // Cr += -Ai*Bi
/*  mfmaIndex:19  */
/* localReadsVacancy: latencyLeft 13 */
v_mfma_f32_32x32x2f32 a[64+0:79+0], v[vgprValuA_X1_I0+0+0+0], v[vgprValuB_X1_I0+0+0+0+1], a[64:79]
 // Ci += Ar*Bi
/*  mfmaIndex:20  */
/* localReadsVacancy: latencyLeft 13 */
v_mfma_f32_32x32x2f32 a[16+0:31+0], v[vgprValuA_X1_I0+0+0+0], v[vgprValuB_X1_I0+2+0+0], a[16:31]
 // Cr += Ar*Br
/*  mfmaIndex:21  */
/* localReadsVacancy: latencyLeft 13 */
v_mfma_f32_32x32x2f32 a[80+0:95+0], v[vgprValuA_X1_I0+0+0+0+1], v[vgprValuB_X1_I0+2+0+0], a[80:95]
 // Ci += Ai*Br
/*  mfmaIndex:22  */
/* localReadsVacancy: latencyLeft 13 */
v_mfma_f32_32x32x2f32 a[16+0:31+0], v43, v[vgprValuB_X1_I0+2+0+0+1], a[16:31]
 // Cr += -Ai*Bi
/*  mfmaIndex:23  */
/* localReadsVacancy: latencyLeft 13 */
v_mfma_f32_32x32x2f32 a[80+0:95+0], v[vgprValuA_X1_I0+0+0+0], v[vgprValuB_X1_I0+2+0+0+1], a[80:95]
 // Ci += Ar*Bi
/*  mfmaIndex:24  */
/* localReadsVacancy: latencyLeft 13 */
	;; [unrolled: 16-line block ×3, first 2 shown]
v_mfma_f32_32x32x2f32 a[48+0:63+0], v[vgprValuA_X1_I0+0+0+0], v[vgprValuB_X1_I0+6+0+0], a[48:63]
 // Cr += Ar*Br
/*  mfmaIndex:29  */
/* localReadsVacancy: latencyLeft 13 */
v_mfma_f32_32x32x2f32 a[112+0:127+0], v[vgprValuA_X1_I0+0+0+0+1], v[vgprValuB_X1_I0+6+0+0], a[112:127]
 // Ci += Ai*Br
/*  mfmaIndex:30  */
/* localReadsVacancy: latencyLeft 13 */
v_mfma_f32_32x32x2f32 a[48+0:63+0], v43, v[vgprValuB_X1_I0+6+0+0+1], a[48:63]
 // Cr += -Ai*Bi
/*  mfmaIndex:31  */
/* localReadsVacancy: latencyLeft 13 */
v_mfma_f32_32x32x2f32 a[112+0:127+0], v[vgprValuA_X1_I0+0+0+0], v[vgprValuB_X1_I0+6+0+0+1], a[112:127]
 // Ci += Ar*Bi
/* numPrefetchIter=0 */
/* dataAtIterA=0 numReadsIterA=2 skipReadsIterA=1 readsPerIterA=1 */
/* dataAtIterB=0 numReadsIterB=2 skipReadsIterB=1 readsPerIterB=4 */


/* iter 2 (reset local read pointers iteration)  (swap local read pointers iteration)  */

/*  grEndMfmaIndex:7, lwStartMfmaIndex:52, lwEndMfmaIndex:59  */
/*  numMfmaForLR:2, barrierMfmaIndex:61 */
/*  mfmaIndex:32  */
_ds_load_b64 v[vgprValuA_X1_I0+0:vgprValuA_X1_I0+0+1], v[vgprLocalReadAddrA] offset:39008 // L -> Reg lro=780 swapByteOffset=32768 ti=128 vIdx=0 rIdx=0 oIdx=0 buffer=1 iui=0
_ds_load_b64 v[vgprValuB_X1_I0+0:vgprValuB_X1_I0+0+1], v[vgprLocalReadAddrB] offset:39008 // L -> Reg lro=780 swapByteOffset=32768 ti=32 vIdx=0 rIdx=0 oIdx=0 buffer=1 iui=0
_ds_load_b64 v[vgprValuB_X1_I0+2:vgprValuB_X1_I0+2+1], v[vgprLocalReadAddrB] offset:39264 // L -> Reg lro=780 swapByteOffset=32768 ti=32 vIdx=1 rIdx=0 oIdx=0 buffer=1 iui=0
	;; [unrolled: 1-line block ×4, first 2 shown]
/* localReadsVacancy: latencyLeft 3 */
s_waitcnt lgkmcnt(5)                               // lgkmcnt=0 vmcnt=-1wait for prior local read local write old=0, new=5 newLW=0 newLR=5
v_add_f32 v43, -v[vgprValuA_X0_I0+0+0+0+1], 0      // Ai=-Ai
v_mfma_f32_32x32x2f32 a[0+0:15+0], v[vgprValuA_X0_I0+0+0+0], v[vgprValuB_X0_I0+0+0+0], a[0:15]
 // Cr += Ar*Br
/*  mfmaIndex:33  */
/* localReadsVacancy: latencyLeft 13 */
v_mfma_f32_32x32x2f32 a[64+0:79+0], v[vgprValuA_X0_I0+0+0+0+1], v[vgprValuB_X0_I0+0+0+0], a[64:79]
 // Ci += Ai*Br
/*  mfmaIndex:34  */
/* localReadsVacancy: latencyLeft 13 */
v_mfma_f32_32x32x2f32 a[0+0:15+0], v43, v[vgprValuB_X0_I0+0+0+0+1], a[0:15]
 // Cr += -Ai*Bi
/*  mfmaIndex:35  */
/* localReadsVacancy: latencyLeft 13 */
v_mfma_f32_32x32x2f32 a[64+0:79+0], v[vgprValuA_X0_I0+0+0+0], v[vgprValuB_X0_I0+0+0+0+1], a[64:79]
 // Ci += Ar*Bi
/*  mfmaIndex:36  */
/* localReadsVacancy: latencyLeft 13 */
v_mfma_f32_32x32x2f32 a[16+0:31+0], v[vgprValuA_X0_I0+0+0+0], v[vgprValuB_X0_I0+2+0+0], a[16:31]
 // Cr += Ar*Br
/*  mfmaIndex:37  */
/* localReadsVacancy: latencyLeft 13 */
v_mfma_f32_32x32x2f32 a[80+0:95+0], v[vgprValuA_X0_I0+0+0+0+1], v[vgprValuB_X0_I0+2+0+0], a[80:95]
 // Ci += Ai*Br
/*  mfmaIndex:38  */
/* localReadsVacancy: latencyLeft 13 */
v_mfma_f32_32x32x2f32 a[16+0:31+0], v43, v[vgprValuB_X0_I0+2+0+0+1], a[16:31]
 // Cr += -Ai*Bi
/*  mfmaIndex:39  */
/* localReadsVacancy: latencyLeft 13 */
v_mfma_f32_32x32x2f32 a[80+0:95+0], v[vgprValuA_X0_I0+0+0+0], v[vgprValuB_X0_I0+2+0+0+1], a[80:95]
 // Ci += Ar*Bi
/*  mfmaIndex:40  */
/* localReadsVacancy: latencyLeft 13 */
	;; [unrolled: 16-line block ×3, first 2 shown]
v_mfma_f32_32x32x2f32 a[48+0:63+0], v[vgprValuA_X0_I0+0+0+0], v[vgprValuB_X0_I0+6+0+0], a[48:63]
 // Cr += Ar*Br
/*  mfmaIndex:45  */
/* localReadsVacancy: latencyLeft 13 */
v_mfma_f32_32x32x2f32 a[112+0:127+0], v[vgprValuA_X0_I0+0+0+0+1], v[vgprValuB_X0_I0+6+0+0], a[112:127]
 // Ci += Ai*Br
/*  mfmaIndex:46  */
/* localReadsVacancy: latencyLeft 13 */
v_mfma_f32_32x32x2f32 a[48+0:63+0], v43, v[vgprValuB_X0_I0+6+0+0+1], a[48:63]
 // Cr += -Ai*Bi
/*  mfmaIndex:47  */
/* localReadsVacancy: latencyLeft 13 */

/* local read swap offsets a */

/* local read swap internal offset -> 0 */

/* local read swap offsets b */

/* local read swap internal offset -> 0 */

/* local read init pointers a */

/* localReadInitPointers */

/* local read init pointers b */

/* localReadInitPointers */
v_mfma_f32_32x32x2f32 a[112+0:127+0], v[vgprValuA_X0_I0+0+0+0], v[vgprValuB_X0_I0+6+0+0+1], a[112:127]
 // Ci += Ar*Bi
/* numPrefetchIter=0 */
/* dataAtIterA=1 numReadsIterA=3 skipReadsIterA=1 readsPerIterA=1 */
/* dataAtIterB=1 numReadsIterB=3 skipReadsIterB=1 readsPerIterB=4 */


/* iter 3 (swap and reset local write pointers iteration)  */

/*  grEndMfmaIndex:7, lwStartMfmaIndex:52, lwEndMfmaIndex:59  */
/*  numMfmaForLR:2, barrierMfmaIndex:61 */
/*  mfmaIndex:48  */
s_waitcnt lgkmcnt(0)                               // lgkmcnt=0 vmcnt=-1wait for prior local read local write old=0, new=0 newLW=0 newLR=0
v_add_f32 v43, -v[vgprValuA_X1_I0+0+0+0+1], 0      // Ai=-Ai
v_mfma_f32_32x32x2f32 a[0+0:15+0], v[vgprValuA_X1_I0+0+0+0], v[vgprValuB_X1_I0+0+0+0], a[0:15]
 // Cr += Ar*Br
/*  mfmaIndex:49  */
v_mfma_f32_32x32x2f32 a[64+0:79+0], v[vgprValuA_X1_I0+0+0+0+1], v[vgprValuB_X1_I0+0+0+0], a[64:79]
 // Ci += Ai*Br
/*  mfmaIndex:50  */
v_mfma_f32_32x32x2f32 a[0+0:15+0], v43, v[vgprValuB_X1_I0+0+0+0+1], a[0:15]
 // Cr += -Ai*Bi
/*  mfmaIndex:51  */
v_mfma_f32_32x32x2f32 a[64+0:79+0], v[vgprValuA_X1_I0+0+0+0], v[vgprValuB_X1_I0+0+0+0+1], a[64:79]
 // Ci += Ar*Bi
/*  mfmaIndex:52  */
/* sched write - iter 3 writesPerItem=1 */
s_waitcnt vmcnt(0)                                 // lgkmcnt=-1 vmcnt=0wait for global read before writing to local
_ds_store_b64 v[vgprLocalWriteAddrA], v[vgprG2LA+0:vgprG2LA+0+1] offset:0 // lwoA_0_0_0_0 = (0*LSCA)*(MT0I+PAD) + (0*LSPA) = 0
v_mfma_f32_32x32x2f32 a[16+0:31+0], v[vgprValuA_X1_I0+0+0+0], v[vgprValuB_X1_I0+2+0+0], a[16:31]
 // Cr += Ar*Br
/*  mfmaIndex:53  */
/* sched write - iter 3 writesPerItem=1 */
s_waitcnt vmcnt(0)                                 // lgkmcnt=-1 vmcnt=0wait for global read before writing to local
_ds_store_b64 v[vgprLocalWriteAddrA], v[vgprG2LA+2:vgprG2LA+2+1] offset:64 // lwoA_0_0_1_0 = (0*LSCA)*(MT0I+PAD) + (1*LSPA) = 64
v_mfma_f32_32x32x2f32 a[80+0:95+0], v[vgprValuA_X1_I0+0+0+0+1], v[vgprValuB_X1_I0+2+0+0], a[80:95]
 // Ci += Ai*Br
/*  mfmaIndex:54  */
/* sched write - iter 3 writesPerItem=1 */
s_waitcnt vmcnt(0)                                 // lgkmcnt=-1 vmcnt=0wait for global read before writing to local
_ds_store_b64 v[vgprLocalWriteAddrA], v[vgprG2LA+4:vgprG2LA+4+1] offset:128 // lwoA_0_0_2_0 = (0*LSCA)*(MT0I+PAD) + (2*LSPA) = 128
v_mfma_f32_32x32x2f32 a[16+0:31+0], v43, v[vgprValuB_X1_I0+2+0+0+1], a[16:31]
 // Cr += -Ai*Bi
/*  mfmaIndex:55  */
/* sched write - iter 3 writesPerItem=1 */
s_waitcnt vmcnt(0)                                 // lgkmcnt=-1 vmcnt=0wait for global read before writing to local
_ds_store_b64 v[vgprLocalWriteAddrA], v[vgprG2LA+6:vgprG2LA+6+1] offset:192 // lwoA_0_0_3_0 = (0*LSCA)*(MT0I+PAD) + (3*LSPA) = 192
v_mfma_f32_32x32x2f32 a[80+0:95+0], v[vgprValuA_X1_I0+0+0+0], v[vgprValuB_X1_I0+2+0+0+1], a[80:95]
 // Ci += Ar*Bi
/*  mfmaIndex:56  */
/* sched write - iter 3 writesPerItem=1 */
s_waitcnt vmcnt(0)                                 // lgkmcnt=-1 vmcnt=0wait for global read before writing to local
_ds_store_b64 v[vgprLocalWriteAddrB], v[vgprG2LB+0:vgprG2LB+0+1] offset:0 // lwoB_0_0_0_0 = (0*LSCB)*(MT1J+PAD) + (0*LSPB) = 0
v_mfma_f32_32x32x2f32 a[32+0:47+0], v[vgprValuA_X1_I0+0+0+0], v[vgprValuB_X1_I0+4+0+0], a[32:47]
 // Cr += Ar*Br
/*  mfmaIndex:57  */
/* sched write - iter 3 writesPerItem=1 */
s_waitcnt vmcnt(0)                                 // lgkmcnt=-1 vmcnt=0wait for global read before writing to local
_ds_store_b64 v[vgprLocalWriteAddrB], v[vgprG2LB+2:vgprG2LB+2+1] offset:64 // lwoB_0_0_1_0 = (0*LSCB)*(MT1J+PAD) + (1*LSPB) = 64
v_mfma_f32_32x32x2f32 a[96+0:111+0], v[vgprValuA_X1_I0+0+0+0+1], v[vgprValuB_X1_I0+4+0+0], a[96:111]
 // Ci += Ai*Br
/*  mfmaIndex:58  */
/* sched write - iter 3 writesPerItem=1 */
s_waitcnt vmcnt(0)                                 // lgkmcnt=-1 vmcnt=0wait for global read before writing to local
_ds_store_b64 v[vgprLocalWriteAddrB], v[vgprG2LB+4:vgprG2LB+4+1] offset:128 // lwoB_0_0_2_0 = (0*LSCB)*(MT1J+PAD) + (2*LSPB) = 128
v_mfma_f32_32x32x2f32 a[32+0:47+0], v43, v[vgprValuB_X1_I0+4+0+0+1], a[32:47]
 // Cr += -Ai*Bi
/*  mfmaIndex:59  */
/* sched write - iter 3 writesPerItem=1 */
s_waitcnt vmcnt(0)                                 // lgkmcnt=-1 vmcnt=0wait for global read before writing to local
_ds_store_b64 v[vgprLocalWriteAddrB], v[vgprG2LB+6:vgprG2LB+6+1] offset:192 // lwoB_0_0_3_0 = (0*LSCB)*(MT1J+PAD) + (3*LSPB) = 192

/* local write swap offsets a */

/* (EPS=1) local write swap internal offset -> 32768 */

/* local write swap offsets b */

/* (EPS=1) local write swap internal offset -> 32768 */
v_mfma_f32_32x32x2f32 a[96+0:111+0], v[vgprValuA_X1_I0+0+0+0], v[vgprValuB_X1_I0+4+0+0+1], a[96:111]
 // Ci += Ar*Bi
/*  mfmaIndex:60  */
v_mfma_f32_32x32x2f32 a[48+0:63+0], v[vgprValuA_X1_I0+0+0+0], v[vgprValuB_X1_I0+6+0+0], a[48:63]
 // Cr += Ar*Br
/*  mfmaIndex:61  */
s_waitcnt lgkmcnt(0)                               // lgkmcnt=0 vmcnt=-13wait for local write
s_waitcnt lgkmcnt(0) & vmcnt(0)                    // force waitcnt0
s_barrier //
v_mfma_f32_32x32x2f32 a[112+0:127+0], v[vgprValuA_X1_I0+0+0+0+1], v[vgprValuB_X1_I0+6+0+0], a[112:127]
 // Ci += Ai*Br
/*  mfmaIndex:62  */
_ds_load_b64 v[vgprValuA_X0_I0+0:vgprValuA_X0_I0+0+1], v[vgprLocalReadAddrA] offset:0 // L -> Reg lro=0 swapByteOffset=0 ti=128 vIdx=0 rIdx=0 oIdx=0 buffer=0 iui=0
_ds_load_b64 v[vgprValuB_X0_I0+0:vgprValuB_X0_I0+0+1], v[vgprLocalReadAddrB] offset:0 // L -> Reg lro=0 swapByteOffset=0 ti=32 vIdx=0 rIdx=0 oIdx=0 buffer=0 iui=0
_ds_load_b64 v[vgprValuB_X0_I0+2:vgprValuB_X0_I0+2+1], v[vgprLocalReadAddrB] offset:256 // L -> Reg lro=0 swapByteOffset=0 ti=32 vIdx=1 rIdx=0 oIdx=0 buffer=0 iui=0
	;; [unrolled: 1-line block ×4, first 2 shown]
v_mfma_f32_32x32x2f32 a[48+0:63+0], v43, v[vgprValuB_X1_I0+6+0+0+1], a[48:63]
 // Cr += -Ai*Bi
/*  mfmaIndex:63  */
v_mfma_f32_32x32x2f32 a[112+0:127+0], v[vgprValuA_X1_I0+0+0+0], v[vgprValuB_X1_I0+6+0+0+1], a[112:127]
 // Ci += Ar*Bi
/* numPrefetchIter=1 */
/* dataAtIterA=2 numReadsIterA=3 skipReadsIterA=1 readsPerIterA=1 */
/* dataAtIterB=2 numReadsIterB=3 skipReadsIterB=1 readsPerIterB=4 */


/******************************************/
/* Unrolled Loop - End 2/2 (final)        */
/******************************************/


/* closeLoop loopL finalLoop=1 tailLoop=0 */
s_sub_u32 s[sgprLoopCounterL], s[sgprLoopCounterL], 1 // dec counterL
s_cmp_eq_i32 s[sgprLoopCounterL], 0x1              // counterL==1
s_cbranch_scc0 LoopBeginL_1                        // restart LoopL
LoopEndL_evenexit_4: // unroll loop eveniter exit
s_branch LoopEndL_2                                // exit unroll loopL (and skip second exit code)
LoopEndL_oddexit_3: // unroll loop odditer exit

/* Select high bank of LDS */
v_xor_b32 v[vgprLocalReadAddrA], 0x8000, v[vgprLocalReadAddrA] // swap Red Blk
v_xor_b32 v[vgprLocalReadAddrB], 0x8000, v[vgprLocalReadAddrB] // swap Red Blk
LoopEndL_2:


/* Before NLL: Check VGPR.checkin for INT8 LW */


/******************************************/
/* Opt. NoLoadLoop Without PAP - Begin                                      */
/******************************************/

s_mov_b32 s66, s[sgprBeta+0]                       // tmp = Beta[0]
s_or_b32 s66, s[sgprBeta+1], s66                   // tmp |= Beta[1] 
s_cmpk_eq_u32 s66, 0x0                             // Beta == 0
s_cbranch_scc0 OptNLL_End_15                       // Branch if Beta is not zero

s_mov_b32 s66, 1.0                                 // Real part of 1.0
s_mov_b32 s67, 0.0                                 // Imaginary part of 1.0
s_cmp_eq_u64 s[sgprAlpha:sgprAlpha+1], s[66:67]    // Alpha == 1.0 ?
s_cbranch_scc0 OptNLL_End_15                       // branch if alpha != 1

s_and_b32 s66, 127, s[sgprSizeI]                   // s66 = s[sgprSizeI] % 128
s_add_u32 s67, -0x1, s[sgprNumWorkGroups0]         // 
s_cmp_ge_u32 s[sgprWorkGroup0], s67                // wg0 >= nwg0-1 ?
s_cselect_b32 s66, s66, 0                          // set rMT0
s_cmpk_gt_u32 s66, 0x0                             // rMT0 > 0
s_cbranch_scc1 OptNLL_End_15                       // jump if edges required
s_and_b32 s66, 127, s[sgprSizeJ]                   // s66 = s[sgprSizeJ] % 128
s_add_u32 s67, -0x1, s[sgprNumWorkGroups1]         // 
s_cmp_ge_u32 s[sgprWorkGroup1], s67                // wg1 >= nwg1-1
s_cselect_b32 s66, s66, 0                          // set rMT1
s_cmpk_gt_u32 s66, 0x0                             // rMT1 > 0
s_cbranch_scc1 OptNLL_End_15                       // jump if edges required

s_and_b32 s67, 7, s[sgprSizesSum+0]                // s67 = s[sgprSizesSum+0] % 8
s_cmp_eq_u32 s67, 0x0                              // numIterL == 0
s_cbranch_scc0 OptNLL_End_15                       // skip if tail loop required


	;; [unrolled: 1-line block ×3, first 2 shown]
/* iter 0 (last unrolled loop) */

/*  grEndMfmaIndex:0, lwStartMfmaIndex:59, lwEndMfmaIndex:59  */
/*  numMfmaForLR:2, barrierMfmaIndex:61 */
/*  mfmaIndex:0  */
s_waitcnt lgkmcnt(0)                               // lgkmcnt=0 vmcnt=-1wait for prior local read local write old=0, new=0 newLW=0 newLR=0
v_add_f32 v43, -v[vgprValuA_X0_I0+0+0+0+1], 0      // Ai=-Ai
v_mfma_f32_32x32x2f32 a[0+0:15+0], v[vgprValuA_X0_I0+0+0+0], v[vgprValuB_X0_I0+0+0+0], a[0:15]
 // Cr += Ar*Br
/*  mfmaIndex:1  */
_ds_load_b64 v[vgprValuA_X1_I0+0:vgprValuA_X1_I0+0+1], v[vgprLocalReadAddrA] offset:2080 // L -> Reg lro=260 swapByteOffset=0 ti=128 vIdx=0 rIdx=0 oIdx=0 buffer=1 iui=0
_ds_load_b64 v[vgprValuB_X1_I0+0:vgprValuB_X1_I0+0+1], v[vgprLocalReadAddrB] offset:2080 // L -> Reg lro=260 swapByteOffset=0 ti=32 vIdx=0 rIdx=0 oIdx=0 buffer=1 iui=0
_ds_load_b64 v[vgprValuB_X1_I0+2:vgprValuB_X1_I0+2+1], v[vgprLocalReadAddrB] offset:2336 // L -> Reg lro=260 swapByteOffset=0 ti=32 vIdx=1 rIdx=0 oIdx=0 buffer=1 iui=0
	;; [unrolled: 1-line block ×4, first 2 shown]
/* localReadsVacancy: latencyLeft 3 */
v_mfma_f32_32x32x2f32 a[64+0:79+0], v[vgprValuA_X0_I0+0+0+0+1], v[vgprValuB_X0_I0+0+0+0], a[64:79]
 // Ci += Ai*Br
/*  mfmaIndex:2  */
/* localReadsVacancy: latencyLeft 13 */
v_mfma_f32_32x32x2f32 a[0+0:15+0], v43, v[vgprValuB_X0_I0+0+0+0+1], a[0:15]
 // Cr += -Ai*Bi
/*  mfmaIndex:3  */
/* localReadsVacancy: latencyLeft 13 */
v_mfma_f32_32x32x2f32 a[64+0:79+0], v[vgprValuA_X0_I0+0+0+0], v[vgprValuB_X0_I0+0+0+0+1], a[64:79]
 // Ci += Ar*Bi
/*  mfmaIndex:4  */
/* localReadsVacancy: latencyLeft 13 */
v_mfma_f32_32x32x2f32 a[16+0:31+0], v[vgprValuA_X0_I0+0+0+0], v[vgprValuB_X0_I0+2+0+0], a[16:31]
 // Cr += Ar*Br
/*  mfmaIndex:5  */
/* localReadsVacancy: latencyLeft 13 */
v_mfma_f32_32x32x2f32 a[80+0:95+0], v[vgprValuA_X0_I0+0+0+0+1], v[vgprValuB_X0_I0+2+0+0], a[80:95]
 // Ci += Ai*Br
/*  mfmaIndex:6  */
/* localReadsVacancy: latencyLeft 13 */
v_mfma_f32_32x32x2f32 a[16+0:31+0], v43, v[vgprValuB_X0_I0+2+0+0+1], a[16:31]
 // Cr += -Ai*Bi
/*  mfmaIndex:7  */
/* localReadsVacancy: latencyLeft 13 */
v_mfma_f32_32x32x2f32 a[80+0:95+0], v[vgprValuA_X0_I0+0+0+0], v[vgprValuB_X0_I0+2+0+0+1], a[80:95]
 // Ci += Ar*Bi
/*  mfmaIndex:8  */
/* localReadsVacancy: latencyLeft 13 */
v_mfma_f32_32x32x2f32 a[32+0:47+0], v[vgprValuA_X0_I0+0+0+0], v[vgprValuB_X0_I0+4+0+0], a[32:47]
 // Cr += Ar*Br
/*  mfmaIndex:9  */
	;; [unrolled: 16-line block ×3, first 2 shown]
/* localReadsVacancy: latencyLeft 13 */
v_mfma_f32_32x32x2f32 a[112+0:127+0], v[vgprValuA_X0_I0+0+0+0+1], v[vgprValuB_X0_I0+6+0+0], a[112:127]
 // Ci += Ai*Br
/*  mfmaIndex:14  */
/* localReadsVacancy: latencyLeft 13 */
v_mfma_f32_32x32x2f32 a[48+0:63+0], v43, v[vgprValuB_X0_I0+6+0+0+1], a[48:63]
 // Cr += -Ai*Bi
/*  mfmaIndex:15  */
/* localReadsVacancy: latencyLeft 13 */
v_mfma_f32_32x32x2f32 a[112+0:127+0], v[vgprValuA_X0_I0+0+0+0], v[vgprValuB_X0_I0+6+0+0+1], a[112:127]
 // Ci += Ar*Bi
/* numPrefetchIter=0 */
/* dataAtIterA=-1 numReadsIterA=1 skipReadsIterA=1 readsPerIterA=1 */
/* dataAtIterB=-1 numReadsIterB=1 skipReadsIterB=1 readsPerIterB=4 */


/* iter 1 (last unrolled loop) */

/*  grEndMfmaIndex:0, lwStartMfmaIndex:59, lwEndMfmaIndex:59  */
/*  numMfmaForLR:2, barrierMfmaIndex:61 */
/*  mfmaIndex:16  */
_ds_load_b64 v[vgprValuA_X0_I0+0:vgprValuA_X0_I0+0+1], v[vgprLocalReadAddrA] offset:4160 // L -> Reg lro=520 swapByteOffset=0 ti=128 vIdx=0 rIdx=0 oIdx=0 buffer=0 iui=0
_ds_load_b64 v[vgprValuB_X0_I0+0:vgprValuB_X0_I0+0+1], v[vgprLocalReadAddrB] offset:4160 // L -> Reg lro=520 swapByteOffset=0 ti=32 vIdx=0 rIdx=0 oIdx=0 buffer=0 iui=0
_ds_load_b64 v[vgprValuB_X0_I0+2:vgprValuB_X0_I0+2+1], v[vgprLocalReadAddrB] offset:4416 // L -> Reg lro=520 swapByteOffset=0 ti=32 vIdx=1 rIdx=0 oIdx=0 buffer=0 iui=0
	;; [unrolled: 1-line block ×4, first 2 shown]
/* localReadsVacancy: latencyLeft 3 */
s_waitcnt lgkmcnt(5)                               // lgkmcnt=0 vmcnt=-1wait for prior local read local write old=0, new=5 newLW=0 newLR=5
v_add_f32 v43, -v[vgprValuA_X1_I0+0+0+0+1], 0      // Ai=-Ai
v_mfma_f32_32x32x2f32 a[0+0:15+0], v[vgprValuA_X1_I0+0+0+0], v[vgprValuB_X1_I0+0+0+0], a[0:15]
 // Cr += Ar*Br
/*  mfmaIndex:17  */
/* localReadsVacancy: latencyLeft 13 */
v_mfma_f32_32x32x2f32 a[64+0:79+0], v[vgprValuA_X1_I0+0+0+0+1], v[vgprValuB_X1_I0+0+0+0], a[64:79]
 // Ci += Ai*Br
/*  mfmaIndex:18  */
/* localReadsVacancy: latencyLeft 13 */
v_mfma_f32_32x32x2f32 a[0+0:15+0], v43, v[vgprValuB_X1_I0+0+0+0+1], a[0:15]
 // Cr += -Ai*Bi
/*  mfmaIndex:19  */
/* localReadsVacancy: latencyLeft 13 */
v_mfma_f32_32x32x2f32 a[64+0:79+0], v[vgprValuA_X1_I0+0+0+0], v[vgprValuB_X1_I0+0+0+0+1], a[64:79]
 // Ci += Ar*Bi
/*  mfmaIndex:20  */
/* localReadsVacancy: latencyLeft 13 */
v_mfma_f32_32x32x2f32 a[16+0:31+0], v[vgprValuA_X1_I0+0+0+0], v[vgprValuB_X1_I0+2+0+0], a[16:31]
 // Cr += Ar*Br
/*  mfmaIndex:21  */
/* localReadsVacancy: latencyLeft 13 */
v_mfma_f32_32x32x2f32 a[80+0:95+0], v[vgprValuA_X1_I0+0+0+0+1], v[vgprValuB_X1_I0+2+0+0], a[80:95]
 // Ci += Ai*Br
/*  mfmaIndex:22  */
/* localReadsVacancy: latencyLeft 13 */
v_mfma_f32_32x32x2f32 a[16+0:31+0], v43, v[vgprValuB_X1_I0+2+0+0+1], a[16:31]
 // Cr += -Ai*Bi
/*  mfmaIndex:23  */
/* localReadsVacancy: latencyLeft 13 */
v_mfma_f32_32x32x2f32 a[80+0:95+0], v[vgprValuA_X1_I0+0+0+0], v[vgprValuB_X1_I0+2+0+0+1], a[80:95]
 // Ci += Ar*Bi
/*  mfmaIndex:24  */
/* localReadsVacancy: latencyLeft 13 */
v_mfma_f32_32x32x2f32 a[32+0:47+0], v[vgprValuA_X1_I0+0+0+0], v[vgprValuB_X1_I0+4+0+0], a[32:47]
 // Cr += Ar*Br
/*  mfmaIndex:25  */
/* localReadsVacancy: latencyLeft 13 */
v_mfma_f32_32x32x2f32 a[96+0:111+0], v[vgprValuA_X1_I0+0+0+0+1], v[vgprValuB_X1_I0+4+0+0], a[96:111]
 // Ci += Ai*Br
/*  mfmaIndex:26  */
/* localReadsVacancy: latencyLeft 13 */
v_mfma_f32_32x32x2f32 a[32+0:47+0], v43, v[vgprValuB_X1_I0+4+0+0+1], a[32:47]
 // Cr += -Ai*Bi
/*  mfmaIndex:27  */
/* localReadsVacancy: latencyLeft 13 */
v_mfma_f32_32x32x2f32 a[96+0:111+0], v[vgprValuA_X1_I0+0+0+0], v[vgprValuB_X1_I0+4+0+0+1], a[96:111]
 // Ci += Ar*Bi
/*  mfmaIndex:28  */
/* localReadsVacancy: latencyLeft 13 */
v_mfma_f32_32x32x2f32 a[48+0:63+0], v[vgprValuA_X1_I0+0+0+0], v[vgprValuB_X1_I0+6+0+0], a[48:63]
 // Cr += Ar*Br
/*  mfmaIndex:29  */
/* localReadsVacancy: latencyLeft 13 */
v_mfma_f32_32x32x2f32 a[112+0:127+0], v[vgprValuA_X1_I0+0+0+0+1], v[vgprValuB_X1_I0+6+0+0], a[112:127]
 // Ci += Ai*Br
/*  mfmaIndex:30  */
/* localReadsVacancy: latencyLeft 13 */
v_mfma_f32_32x32x2f32 a[48+0:63+0], v43, v[vgprValuB_X1_I0+6+0+0+1], a[48:63]
 // Cr += -Ai*Bi
/*  mfmaIndex:31  */
/* localReadsVacancy: latencyLeft 13 */
v_mfma_f32_32x32x2f32 a[112+0:127+0], v[vgprValuA_X1_I0+0+0+0], v[vgprValuB_X1_I0+6+0+0+1], a[112:127]
 // Ci += Ar*Bi
/* numPrefetchIter=0 */
/* dataAtIterA=0 numReadsIterA=2 skipReadsIterA=1 readsPerIterA=1 */
/* dataAtIterB=0 numReadsIterB=2 skipReadsIterB=1 readsPerIterB=4 */


/* iter 2 (last unrolled loop) */

/*  grEndMfmaIndex:0, lwStartMfmaIndex:59, lwEndMfmaIndex:59  */
/*  numMfmaForLR:2, barrierMfmaIndex:61 */
/*  mfmaIndex:32  */
_ds_load_b64 v[vgprValuA_X1_I0+0:vgprValuA_X1_I0+0+1], v[vgprLocalReadAddrA] offset:6240 // L -> Reg lro=780 swapByteOffset=0 ti=128 vIdx=0 rIdx=0 oIdx=0 buffer=1 iui=0
_ds_load_b64 v[vgprValuB_X1_I0+0:vgprValuB_X1_I0+0+1], v[vgprLocalReadAddrB] offset:6240 // L -> Reg lro=780 swapByteOffset=0 ti=32 vIdx=0 rIdx=0 oIdx=0 buffer=1 iui=0
_ds_load_b64 v[vgprValuB_X1_I0+2:vgprValuB_X1_I0+2+1], v[vgprLocalReadAddrB] offset:6496 // L -> Reg lro=780 swapByteOffset=0 ti=32 vIdx=1 rIdx=0 oIdx=0 buffer=1 iui=0
_ds_load_b64 v[vgprValuB_X1_I0+4:vgprValuB_X1_I0+4+1], v[vgprLocalReadAddrB] offset:6752 // L -> Reg lro=780 swapByteOffset=0 ti=32 vIdx=2 rIdx=0 oIdx=0 buffer=1 iui=0
_ds_load_b64 v[vgprValuB_X1_I0+6:vgprValuB_X1_I0+6+1], v[vgprLocalReadAddrB] offset:7008 // L -> Reg lro=780 swapByteOffset=0 ti=32 vIdx=3 rIdx=0 oIdx=0 buffer=1 iui=0
/* localReadsVacancy: latencyLeft 3 */
s_waitcnt lgkmcnt(5)                               // lgkmcnt=0 vmcnt=-1wait for prior local read local write old=0, new=5 newLW=0 newLR=5
v_add_f32 v43, -v[vgprValuA_X0_I0+0+0+0+1], 0      // Ai=-Ai
v_mfma_f32_32x32x2f32 a[0+0:15+0], v[vgprValuA_X0_I0+0+0+0], v[vgprValuB_X0_I0+0+0+0], a[0:15]
 // Cr += Ar*Br
/*  mfmaIndex:33  */
/* localReadsVacancy: latencyLeft 13 */
v_mfma_f32_32x32x2f32 a[64+0:79+0], v[vgprValuA_X0_I0+0+0+0+1], v[vgprValuB_X0_I0+0+0+0], a[64:79]
 // Ci += Ai*Br
/*  mfmaIndex:34  */
/* localReadsVacancy: latencyLeft 13 */
v_mfma_f32_32x32x2f32 a[0+0:15+0], v43, v[vgprValuB_X0_I0+0+0+0+1], a[0:15]
 // Cr += -Ai*Bi
/*  mfmaIndex:35  */
/* localReadsVacancy: latencyLeft 13 */
v_mfma_f32_32x32x2f32 a[64+0:79+0], v[vgprValuA_X0_I0+0+0+0], v[vgprValuB_X0_I0+0+0+0+1], a[64:79]
 // Ci += Ar*Bi
/*  mfmaIndex:36  */
/* localReadsVacancy: latencyLeft 13 */
v_mfma_f32_32x32x2f32 a[16+0:31+0], v[vgprValuA_X0_I0+0+0+0], v[vgprValuB_X0_I0+2+0+0], a[16:31]
 // Cr += Ar*Br
/*  mfmaIndex:37  */
/* localReadsVacancy: latencyLeft 13 */
v_mfma_f32_32x32x2f32 a[80+0:95+0], v[vgprValuA_X0_I0+0+0+0+1], v[vgprValuB_X0_I0+2+0+0], a[80:95]
 // Ci += Ai*Br
/*  mfmaIndex:38  */
/* localReadsVacancy: latencyLeft 13 */
v_mfma_f32_32x32x2f32 a[16+0:31+0], v43, v[vgprValuB_X0_I0+2+0+0+1], a[16:31]
 // Cr += -Ai*Bi
/*  mfmaIndex:39  */
/* localReadsVacancy: latencyLeft 13 */
v_mfma_f32_32x32x2f32 a[80+0:95+0], v[vgprValuA_X0_I0+0+0+0], v[vgprValuB_X0_I0+2+0+0+1], a[80:95]
 // Ci += Ar*Bi
/*  mfmaIndex:40  */
/* localReadsVacancy: latencyLeft 13 */
	;; [unrolled: 16-line block ×3, first 2 shown]
v_mfma_f32_32x32x2f32 a[48+0:63+0], v[vgprValuA_X0_I0+0+0+0], v[vgprValuB_X0_I0+6+0+0], a[48:63]
 // Cr += Ar*Br
/*  mfmaIndex:45  */
/* localReadsVacancy: latencyLeft 13 */
v_mfma_f32_32x32x2f32 a[112+0:127+0], v[vgprValuA_X0_I0+0+0+0+1], v[vgprValuB_X0_I0+6+0+0], a[112:127]
 // Ci += Ai*Br
/*  mfmaIndex:46  */
/* localReadsVacancy: latencyLeft 13 */
v_mfma_f32_32x32x2f32 a[48+0:63+0], v43, v[vgprValuB_X0_I0+6+0+0+1], a[48:63]
 // Cr += -Ai*Bi
/*  mfmaIndex:47  */
/* localReadsVacancy: latencyLeft 13 */
v_mfma_f32_32x32x2f32 a[112+0:127+0], v[vgprValuA_X0_I0+0+0+0], v[vgprValuB_X0_I0+6+0+0+1], a[112:127]
 // Ci += Ar*Bi
/* numPrefetchIter=0 */
/* dataAtIterA=1 numReadsIterA=3 skipReadsIterA=1 readsPerIterA=1 */
/* dataAtIterB=1 numReadsIterB=3 skipReadsIterB=1 readsPerIterB=4 */


/* iter 3 (last unrolled loop) */

/*  grEndMfmaIndex:0, lwStartMfmaIndex:59, lwEndMfmaIndex:59  */
/*  numMfmaForLR:2, barrierMfmaIndex:61 */
/*  mfmaIndex:48  */
s_waitcnt lgkmcnt(0)                               // lgkmcnt=0 vmcnt=-1wait for prior local read local write old=0, new=0 newLW=0 newLR=0
v_add_f32 v43, -v[vgprValuA_X1_I0+0+0+0+1], 0      // Ai=-Ai
v_mfma_f32_32x32x2f32 a[0+0:15+0], v[vgprValuA_X1_I0+0+0+0], v[vgprValuB_X1_I0+0+0+0], a[0:15]
 // Cr += Ar*Br
/*  mfmaIndex:49  */
v_mfma_f32_32x32x2f32 a[64+0:79+0], v[vgprValuA_X1_I0+0+0+0+1], v[vgprValuB_X1_I0+0+0+0], a[64:79]
 // Ci += Ai*Br
/*  mfmaIndex:50  */
v_mfma_f32_32x32x2f32 a[0+0:15+0], v43, v[vgprValuB_X1_I0+0+0+0+1], a[0:15]
 // Cr += -Ai*Bi
/*  mfmaIndex:51  */
v_mfma_f32_32x32x2f32 a[64+0:79+0], v[vgprValuA_X1_I0+0+0+0], v[vgprValuB_X1_I0+0+0+0+1], a[64:79]
 // Ci += Ar*Bi
/*  mfmaIndex:52  */
v_mfma_f32_32x32x2f32 a[16+0:31+0], v[vgprValuA_X1_I0+0+0+0], v[vgprValuB_X1_I0+2+0+0], a[16:31]
 // Cr += Ar*Br
/*  mfmaIndex:53  */
v_mfma_f32_32x32x2f32 a[80+0:95+0], v[vgprValuA_X1_I0+0+0+0+1], v[vgprValuB_X1_I0+2+0+0], a[80:95]
 // Ci += Ai*Br
/*  mfmaIndex:54  */
v_mfma_f32_32x32x2f32 a[16+0:31+0], v43, v[vgprValuB_X1_I0+2+0+0+1], a[16:31]
 // Cr += -Ai*Bi
/*  mfmaIndex:55  */
v_mfma_f32_32x32x2f32 a[80+0:95+0], v[vgprValuA_X1_I0+0+0+0], v[vgprValuB_X1_I0+2+0+0+1], a[80:95]
 // Ci += Ar*Bi
/*  mfmaIndex:56  */
	;; [unrolled: 12-line block ×3, first 2 shown]
v_mfma_f32_32x32x2f32 a[48+0:63+0], v[vgprValuA_X1_I0+0+0+0], v[vgprValuB_X1_I0+6+0+0], a[48:63]
 // Cr += Ar*Br
/*  mfmaIndex:61  */
v_mfma_f32_32x32x2f32 a[112+0:127+0], v[vgprValuA_X1_I0+0+0+0+1], v[vgprValuB_X1_I0+6+0+0], a[112:127]
 // Ci += Ai*Br
/*  mfmaIndex:62  */
v_mfma_f32_32x32x2f32 a[48+0:63+0], v43, v[vgprValuB_X1_I0+6+0+0+1], a[48:63]
 // Cr += -Ai*Bi
/*  mfmaIndex:63  */
v_mfma_f32_32x32x2f32 a[112+0:127+0], v[vgprValuA_X1_I0+0+0+0], v[vgprValuB_X1_I0+6+0+0+1], a[112:127]
 // Ci += Ar*Bi
/* numPrefetchIter=0 */
/* dataAtIterA=2 numReadsIterA=3 skipReadsIterA=0 readsPerIterA=1 */
/* dataAtIterB=2 numReadsIterB=3 skipReadsIterB=0 readsPerIterB=4 */

/* Stores for OptNLL */
Summation_End_OptNLL_16:
/* endSummation: add vgpr [0...40) to pool */
.set NumFullBlocks, UNDEF
.set WgmRemainder1, UNDEF
.set MagicNumberWgmRemainder1, UNDEF
.set ScalarGlobalReadOffsetA, UNDEF
.set ScalarGlobalReadOffsetB, UNDEF

/* Mapping of Acc register -> C Vgpr register */
/* computeStoreVgprs */
v_lshrrev_b32 v4, 6, v[vgprSerial]                 // v4 = v[vgprSerial] / 64
v_lshrrev_b32 v1, 2, v4                            // v1 = v4 / 4
v_mul_lo_u32 v1, 0x20, v1                          // wave coordination offset 1
v_and_b32 v5, 31, v[vgprSerial]                    // v5 = v[vgprSerial] % 32
_v_add_lshl_u32 v1, v5, v1, 0                      // coordination 1 = vwb *(wave_id1 + tid1)
v_mul_lo_u32 v2, v1, s[sgprStrideC1J]              //  offset 1
v_mul_lo_u32 v3, v1, s[sgprStrideD1J]              //  offset 1
v_and_b32 v0, 63, v[vgprSerial]                    // v0 = v[vgprSerial] % 64
v_lshrrev_b32 v0, 5, v0                            // v0 = v0 / 32
v_lshlrev_b32 v0, 0x2, v0                          // thread0 * continuous_output
v_and_b32 v5, 3, v4                                // v5 = v4 % 4
v_mul_lo_u32 v5, 0x20, v5                          // wave coordination offset 0
_v_add_lshl_u32 v0, v5, v0, 0                      // coordination 0 = vwa *(wave_id0 + tid0)
s_mul_i32 s55, 128, s[sgprWorkGroup0]              // wgp0 * MT0
_v_add_u32 v0, s55, v0                             // coord 0 = (tid0/MI_m)*4 + waveG0*MIB_m + MT0*SG0
s_mul_i32 s55, 128, s[sgprWorkGroup1]              // wgp1 * MT1
_v_add_u32 v1, s55, v1                             // coord 1 = (tid0%MI_m) + waveG1*MIB_n + MT1*SG1
/* Store Remap Local Write address */
v_lshrrev_b32 v5, 8, v[vgprSerial]                 // v5 = v[vgprSerial] / 256
v_and_b32 v4, 255, v[vgprSerial]                   // v4 = v[vgprSerial] % 256
v_mul_lo_u32 v13, 0x20, v5                         // coord1 offset of LDS for each Wave
v_and_b32 v5, 0x1f, v[vgprSerial]                  // coord1 offset of LDS for each thread
_v_add_u32 v5, v13, v5                             // coord1 offset in MacroTile
v_mov_b32 v11, 0x84                                // lds stride = MT0 + PAD
v_mul_lo_u32 v9, v5, v11                           // lds coord1 offset = Col-id* lds stride
v_lshrrev_b32 v10, 6, v4                           // v10 = v4 / 64
v_and_b32 v4, 63, v4                               // v4 = v4 % 64
v_lshrrev_b32 v12, 0x5, v4                         // tid / matrixInstN
v_lshlrev_b32 v12, 0x2, v12                        // lds coord0 offset *= 4 (each thread hold 4 element)
v_mad_u32_u24 v12, 32, v10, v12                    // coord0 += waveCoord0 * wave M shape(blockM*MiM)
_v_add_lshl_u32 v7, v9, v12, 0x3                   // local write C address

/* Store Remap Local Read address */
v_lshrrev_b32 v5, 6, v[vgprSerial]                 // v5 = v[vgprSerial] / 64
v_and_b32 v4, 63, v[vgprSerial]                    // v4 = v[vgprSerial] % 64
v_mul_lo_u32 v13, 0x8, v5                          // coord1 offset of LDS for each Wave
v_lshrrev_b32 v10, 0x6, v4                         // tid / nThreadPerCol
_v_add_u32 v6, v13, v10                            // coord1 offset in MacroTile
v_mul_lo_u32 v9, v6, v11                           // lds coord1 offset = Col-id* lds stride
v_and_b32 v12, 0x3f, v4                            // coord0 offset of LDS for each thread
v_lshlrev_b32 v12, 0x1, v12                        // lds coord0 offset *= gwvw (each thread hold gwvw element)
_v_add_lshl_u32 v8, v9, v12, 0x3                   // local read C address

/* Store Remap global write coord0 and coord1 */
v_lshrrev_b32 v5, 8, v[vgprSerial]                 // v5 = v[vgprSerial] / 256
v_and_b32 v4, 255, v[vgprSerial]                   // v4 = v[vgprSerial] % 256
v_mul_lo_u32 v13, 0x20, v5                         // coord1 offset of global memory for each Wave
v_lshrrev_b32 v5, 6, v4                            // v5 = v4 / 64
v_and_b32 v4, 63, v4                               // v4 = v4 % 64
v_mad_u32_u24 v13, 8, v5, v13                      // waveCoord1 += waveCoord0 * MiN / WaveGroupM
v_lshrrev_b32 v10, 0x6, v4                         // tid / nThreadPerCol
_v_add_u32 v6, v13, v10                            // coord1 offset in MacroTile
s_mul_i32 s56, 0x80, s[sgprWorkGroup0]             // s56 = wg0*MT0
_v_add_co_u32 v4, vcc, s56, v12                    // coord0 = coord0 + wg0 * MT0
s_mul_i32 s57, MT1, s[sgprWorkGroup1]              // <- wg1*MT1
_v_add_co_u32 v5, vcc, s57, v6                     // coord1 = tid1*VW + wg1*MT1

s_waitcnt lgkmcnt(0) & vmcnt(0)                    // force waitcnt0
s_barrier //StoreRemap Start
GW_B0_E0_19:

/* edge=0, allocate 2 sgpr. perBatchTmpS=2 perBatchMaskS=0 perElementMaskS=0 elementsPerBatch=8 */
/* optSingleColVgpr=1 optSharedColVgpr=0 optSGPRUsage=BufferLoad_Mask optSrdIncForRow=1 */

/******************************************/
/* Global Write Batch #0 (d1,d0,vc1,vc0) = */
/*    (0,0,0,0:vw2); (0,0,0,2:vw2); (0,1,0,0:vw2); (0,1,0,2:vw2); (0,2,0,0:vw2); (0,2,0,2:vw2); (0,3,0,0:vw2); (0,3,0,2:vw2) */
/******************************************/

/* calc coords, apply mask, and issue loads (if necessary) */
/* (d1,vc1,d0,vc0)=(0,0,0,0) */
/* (d1,vc1,d0,vc0)=(0,0,0,2) */
	;; [unrolled: 1-line block ×8, first 2 shown]
_v_add_lshl_u32 v9, v3, v0, 0x3                    // optSingleColVgpr scaleToBpe: sharedAddrVgpr <- cinRowPtr + coord0, scaled by BPE. BSHERE:coord0=0, coord0Vgpr=0
v_accvgpr_read_b32 v[vgprValuC+16], acc0 // copy acc to vreg[0]
v_accvgpr_read_b32 v[vgprValuC+17], acc64 // copy acc to vreg[1]
v_accvgpr_read_b32 v[vgprValuC+18], acc1 // copy acc to vreg[2]
v_accvgpr_read_b32 v[vgprValuC+19], acc65 // copy acc to vreg[3]
v_accvgpr_read_b32 v[vgprValuC+20], acc2 // copy acc to vreg[4]
v_accvgpr_read_b32 v[vgprValuC+21], acc66 // copy acc to vreg[5]
v_accvgpr_read_b32 v[vgprValuC+22], acc3 // copy acc to vreg[6]
v_accvgpr_read_b32 v[vgprValuC+23], acc67 // copy acc to vreg[7]
v_accvgpr_read_b32 v[vgprValuC+24], acc4 // copy acc to vreg[8]
v_accvgpr_read_b32 v[vgprValuC+25], acc68 // copy acc to vreg[9]
v_accvgpr_read_b32 v[vgprValuC+26], acc5 // copy acc to vreg[10]
v_accvgpr_read_b32 v[vgprValuC+27], acc69 // copy acc to vreg[11]
v_accvgpr_read_b32 v[vgprValuC+28], acc6 // copy acc to vreg[12]
v_accvgpr_read_b32 v[vgprValuC+29], acc70 // copy acc to vreg[13]
v_accvgpr_read_b32 v[vgprValuC+30], acc7 // copy acc to vreg[14]
v_accvgpr_read_b32 v[vgprValuC+31], acc71 // copy acc to vreg[15]
v_accvgpr_read_b32 v[vgprValuC+32], acc8 // copy acc to vreg[16]
v_accvgpr_read_b32 v[vgprValuC+33], acc72 // copy acc to vreg[17]
v_accvgpr_read_b32 v[vgprValuC+34], acc9 // copy acc to vreg[18]
v_accvgpr_read_b32 v[vgprValuC+35], acc73 // copy acc to vreg[19]
v_accvgpr_read_b32 v[vgprValuC+36], acc10 // copy acc to vreg[20]
v_accvgpr_read_b32 v[vgprValuC+37], acc74 // copy acc to vreg[21]
v_accvgpr_read_b32 v[vgprValuC+38], acc11 // copy acc to vreg[22]
v_accvgpr_read_b32 v[vgprValuC+39], acc75 // copy acc to vreg[23]
v_accvgpr_read_b32 v[vgprValuC+44], acc12 // copy acc to vreg[24]
v_accvgpr_read_b32 v[vgprValuC+45], acc76 // copy acc to vreg[25]
v_accvgpr_read_b32 v[vgprValuC+46], acc13 // copy acc to vreg[26]
v_accvgpr_read_b32 v[vgprValuC+47], acc77 // copy acc to vreg[27]
v_accvgpr_read_b32 v[vgprValuC+48], acc14 // copy acc to vreg[28]
v_accvgpr_read_b32 v[vgprValuC+49], acc78 // copy acc to vreg[29]
v_accvgpr_read_b32 v[vgprValuC+50], acc15 // copy acc to vreg[30]
v_accvgpr_read_b32 v[vgprValuC+51], acc79 // copy acc to vreg[31]
s_nop 1                                            // 2 wait states required before reading vgpr

/* apply mask, calc new C and issue writes */
_ds_store_b128 v7, v[16:19], offset:0              // storeRemap lw
_ds_store_b128 v7, v[20:23], offset:16             // storeRemap lw
_ds_store_b128 v7, v[24:27], offset:64             // storeRemap lw
	;; [unrolled: 1-line block ×3, first 2 shown]
_ds_store_b128 v7, v[32:35], offset:128            // storeRemap lw
_ds_store_b128 v7, v[36:39], offset:144            // storeRemap lw
	;; [unrolled: 1-line block ×4, first 2 shown]

/* Handle local read and global write */
s_waitcnt lgkmcnt(0)                               // wait for LDS write
s_barrier //wait all lds write finished

_ds_load_b128 v[16:19], v8, offset:0               // storeRemap lr
_ds_load_b128 v[20:23], v8, offset:1056            // storeRemap lr
_ds_load_b128 v[24:27], v8, offset:2112            // storeRemap lr
	;; [unrolled: 1-line block ×7, first 2 shown]

v_mov_b32 v13, v6                                  // coord1
v_mul_lo_u32 v13, v13, s[sgprStrideD1J]            // coord1 offset =  coord1 * StrideD
_v_add_lshl_u32 v13, v13, v4, 0x3                  // global write D address
s_waitcnt lgkmcnt(7)                               // wait for LDS read
_buffer_store_b128 v[16:19], v13, s[sgprSrdD:sgprSrdD+3], 0, offen, offset:0 // store D
_v_add_u32 v13, v6, 1                              // coord1 += nColPerLoad
v_mul_lo_u32 v13, v13, s[sgprStrideD1J]            // coord1 offset =  coord1 * StrideD
_v_add_lshl_u32 v13, v13, v4, 0x3                  // global write D address
s_waitcnt lgkmcnt(6)                               // wait for LDS read
_buffer_store_b128 v[20:23], v13, s[sgprSrdD:sgprSrdD+3], 0, offen, offset:0 // store D
_v_add_u32 v13, v6, 2                              // coord1 += nColPerLoad
	;; [unrolled: 5-line block ×7, first 2 shown]
v_mul_lo_u32 v13, v13, s[sgprStrideD1J]            // coord1 offset =  coord1 * StrideD
_v_add_lshl_u32 v13, v13, v4, 0x3                  // global write D address
s_waitcnt lgkmcnt(0)                               // wait for LDS read
_buffer_store_b128 v[48:51], v13, s[sgprSrdD:sgprSrdD+3], 0, offen, offset:0 // store D

s_barrier //wait all lds read finished
s_nop 0                                            // 1 wait state required when next inst writes vgprs held by previous dwordx4 store inst
/* optSingleColVgpr=1 optSharedColVgpr=0 optSGPRUsage=BufferLoad_Mask optSrdIncForRow=1 */

/******************************************/
/* Global Write Batch #1 (d1,d0,vc1,vc0) = */
/*    (1,0,0,0:vw2); (1,0,0,2:vw2); (1,1,0,0:vw2); (1,1,0,2:vw2); (1,2,0,0:vw2); (1,2,0,2:vw2); (1,3,0,0:vw2); (1,3,0,2:vw2) */
/******************************************/

/* calc coords, apply mask, and issue loads (if necessary) */
/* (d1,vc1,d0,vc0)=(1,0,0,0) */
/* (d1,vc1,d0,vc0)=(1,0,0,2) */
	;; [unrolled: 1-line block ×8, first 2 shown]
v_accvgpr_read_b32 v[vgprValuC+16], acc16 // copy acc to vreg[32]
v_accvgpr_read_b32 v[vgprValuC+17], acc80 // copy acc to vreg[33]
v_accvgpr_read_b32 v[vgprValuC+18], acc17 // copy acc to vreg[34]
v_accvgpr_read_b32 v[vgprValuC+19], acc81 // copy acc to vreg[35]
v_accvgpr_read_b32 v[vgprValuC+20], acc18 // copy acc to vreg[36]
v_accvgpr_read_b32 v[vgprValuC+21], acc82 // copy acc to vreg[37]
v_accvgpr_read_b32 v[vgprValuC+22], acc19 // copy acc to vreg[38]
v_accvgpr_read_b32 v[vgprValuC+23], acc83 // copy acc to vreg[39]
v_accvgpr_read_b32 v[vgprValuC+24], acc20 // copy acc to vreg[40]
v_accvgpr_read_b32 v[vgprValuC+25], acc84 // copy acc to vreg[41]
v_accvgpr_read_b32 v[vgprValuC+26], acc21 // copy acc to vreg[42]
v_accvgpr_read_b32 v[vgprValuC+27], acc85 // copy acc to vreg[43]
v_accvgpr_read_b32 v[vgprValuC+28], acc22 // copy acc to vreg[44]
v_accvgpr_read_b32 v[vgprValuC+29], acc86 // copy acc to vreg[45]
v_accvgpr_read_b32 v[vgprValuC+30], acc23 // copy acc to vreg[46]
v_accvgpr_read_b32 v[vgprValuC+31], acc87 // copy acc to vreg[47]
v_accvgpr_read_b32 v[vgprValuC+32], acc24 // copy acc to vreg[48]
v_accvgpr_read_b32 v[vgprValuC+33], acc88 // copy acc to vreg[49]
v_accvgpr_read_b32 v[vgprValuC+34], acc25 // copy acc to vreg[50]
v_accvgpr_read_b32 v[vgprValuC+35], acc89 // copy acc to vreg[51]
v_accvgpr_read_b32 v[vgprValuC+36], acc26 // copy acc to vreg[52]
v_accvgpr_read_b32 v[vgprValuC+37], acc90 // copy acc to vreg[53]
v_accvgpr_read_b32 v[vgprValuC+38], acc27 // copy acc to vreg[54]
v_accvgpr_read_b32 v[vgprValuC+39], acc91 // copy acc to vreg[55]
v_accvgpr_read_b32 v[vgprValuC+44], acc28 // copy acc to vreg[56]
v_accvgpr_read_b32 v[vgprValuC+45], acc92 // copy acc to vreg[57]
v_accvgpr_read_b32 v[vgprValuC+46], acc29 // copy acc to vreg[58]
v_accvgpr_read_b32 v[vgprValuC+47], acc93 // copy acc to vreg[59]
v_accvgpr_read_b32 v[vgprValuC+48], acc30 // copy acc to vreg[60]
v_accvgpr_read_b32 v[vgprValuC+49], acc94 // copy acc to vreg[61]
v_accvgpr_read_b32 v[vgprValuC+50], acc31 // copy acc to vreg[62]
v_accvgpr_read_b32 v[vgprValuC+51], acc95 // copy acc to vreg[63]
s_nop 1                                            // 2 wait states required before reading vgpr

/* apply mask, calc new C and issue writes */

/* StoreRemap: shift coord1 address */
s_mul_i32 s56, s[sgprStrideD1J], 256               // scale StrideD *= numRows(32) * bpe
s_add_u32  s[sgprSrdD+0], s[sgprSrdD+0], s56       // incToNextRow: gra SRD += inc(lower)
s_addc_u32  s[sgprSrdD+1], s[sgprSrdD+1], 0        // incToNextRow: gra SRD += inc(upper)
v_mov_b32 v10, 32                                  // set shift rows
_v_add_u32 v5, v5, v10                             // shift storeRemap coord1
_ds_store_b128 v7, v[16:19], offset:0              // storeRemap lw
_ds_store_b128 v7, v[20:23], offset:16             // storeRemap lw
_ds_store_b128 v7, v[24:27], offset:64             // storeRemap lw
	;; [unrolled: 1-line block ×3, first 2 shown]
_ds_store_b128 v7, v[32:35], offset:128            // storeRemap lw
_ds_store_b128 v7, v[36:39], offset:144            // storeRemap lw
_ds_store_b128 v7, v[44:47], offset:192            // storeRemap lw
_ds_store_b128 v7, v[48:51], offset:208            // storeRemap lw

/* Handle local read and global write */
s_waitcnt lgkmcnt(0)                               // wait for LDS write
s_barrier //wait all lds write finished

_ds_load_b128 v[16:19], v8, offset:0               // storeRemap lr
_ds_load_b128 v[20:23], v8, offset:1056            // storeRemap lr
_ds_load_b128 v[24:27], v8, offset:2112            // storeRemap lr
	;; [unrolled: 1-line block ×7, first 2 shown]

v_mov_b32 v13, v6                                  // coord1
v_mul_lo_u32 v13, v13, s[sgprStrideD1J]            // coord1 offset =  coord1 * StrideD
_v_add_lshl_u32 v13, v13, v4, 0x3                  // global write D address
s_waitcnt lgkmcnt(7)                               // wait for LDS read
_buffer_store_b128 v[16:19], v13, s[sgprSrdD:sgprSrdD+3], 0, offen, offset:0 // store D
_v_add_u32 v13, v6, 1                              // coord1 += nColPerLoad
v_mul_lo_u32 v13, v13, s[sgprStrideD1J]            // coord1 offset =  coord1 * StrideD
_v_add_lshl_u32 v13, v13, v4, 0x3                  // global write D address
s_waitcnt lgkmcnt(6)                               // wait for LDS read
_buffer_store_b128 v[20:23], v13, s[sgprSrdD:sgprSrdD+3], 0, offen, offset:0 // store D
_v_add_u32 v13, v6, 2                              // coord1 += nColPerLoad
v_mul_lo_u32 v13, v13, s[sgprStrideD1J]            // coord1 offset =  coord1 * StrideD
_v_add_lshl_u32 v13, v13, v4, 0x3                  // global write D address
s_waitcnt lgkmcnt(5)                               // wait for LDS read
_buffer_store_b128 v[24:27], v13, s[sgprSrdD:sgprSrdD+3], 0, offen, offset:0 // store D
_v_add_u32 v13, v6, 3                              // coord1 += nColPerLoad
v_mul_lo_u32 v13, v13, s[sgprStrideD1J]            // coord1 offset =  coord1 * StrideD
_v_add_lshl_u32 v13, v13, v4, 0x3                  // global write D address
s_waitcnt lgkmcnt(4)                               // wait for LDS read
_buffer_store_b128 v[28:31], v13, s[sgprSrdD:sgprSrdD+3], 0, offen, offset:0 // store D
_v_add_u32 v13, v6, 4                              // coord1 += nColPerLoad
v_mul_lo_u32 v13, v13, s[sgprStrideD1J]            // coord1 offset =  coord1 * StrideD
_v_add_lshl_u32 v13, v13, v4, 0x3                  // global write D address
s_waitcnt lgkmcnt(3)                               // wait for LDS read
_buffer_store_b128 v[32:35], v13, s[sgprSrdD:sgprSrdD+3], 0, offen, offset:0 // store D
_v_add_u32 v13, v6, 5                              // coord1 += nColPerLoad
v_mul_lo_u32 v13, v13, s[sgprStrideD1J]            // coord1 offset =  coord1 * StrideD
_v_add_lshl_u32 v13, v13, v4, 0x3                  // global write D address
s_waitcnt lgkmcnt(2)                               // wait for LDS read
_buffer_store_b128 v[36:39], v13, s[sgprSrdD:sgprSrdD+3], 0, offen, offset:0 // store D
_v_add_u32 v13, v6, 6                              // coord1 += nColPerLoad
v_mul_lo_u32 v13, v13, s[sgprStrideD1J]            // coord1 offset =  coord1 * StrideD
_v_add_lshl_u32 v13, v13, v4, 0x3                  // global write D address
s_waitcnt lgkmcnt(1)                               // wait for LDS read
_buffer_store_b128 v[44:47], v13, s[sgprSrdD:sgprSrdD+3], 0, offen, offset:0 // store D
_v_add_u32 v13, v6, 7                              // coord1 += nColPerLoad
v_mul_lo_u32 v13, v13, s[sgprStrideD1J]            // coord1 offset =  coord1 * StrideD
_v_add_lshl_u32 v13, v13, v4, 0x3                  // global write D address
s_waitcnt lgkmcnt(0)                               // wait for LDS read
_buffer_store_b128 v[48:51], v13, s[sgprSrdD:sgprSrdD+3], 0, offen, offset:0 // store D

s_barrier //wait all lds read finished
s_nop 0                                            // 1 wait state required when next inst writes vgprs held by previous dwordx4 store inst
/* optSingleColVgpr=1 optSharedColVgpr=0 optSGPRUsage=BufferLoad_Mask optSrdIncForRow=1 */

/******************************************/
/* Global Write Batch #2 (d1,d0,vc1,vc0) = */
/*    (2,0,0,0:vw2); (2,0,0,2:vw2); (2,1,0,0:vw2); (2,1,0,2:vw2); (2,2,0,0:vw2); (2,2,0,2:vw2); (2,3,0,0:vw2); (2,3,0,2:vw2) */
/******************************************/

/* calc coords, apply mask, and issue loads (if necessary) */
/* (d1,vc1,d0,vc0)=(2,0,0,0) */
/* (d1,vc1,d0,vc0)=(2,0,0,2) */
	;; [unrolled: 1-line block ×8, first 2 shown]
v_accvgpr_read_b32 v[vgprValuC+16], acc32 // copy acc to vreg[64]
v_accvgpr_read_b32 v[vgprValuC+17], acc96 // copy acc to vreg[65]
v_accvgpr_read_b32 v[vgprValuC+18], acc33 // copy acc to vreg[66]
v_accvgpr_read_b32 v[vgprValuC+19], acc97 // copy acc to vreg[67]
v_accvgpr_read_b32 v[vgprValuC+20], acc34 // copy acc to vreg[68]
v_accvgpr_read_b32 v[vgprValuC+21], acc98 // copy acc to vreg[69]
v_accvgpr_read_b32 v[vgprValuC+22], acc35 // copy acc to vreg[70]
v_accvgpr_read_b32 v[vgprValuC+23], acc99 // copy acc to vreg[71]
v_accvgpr_read_b32 v[vgprValuC+24], acc36 // copy acc to vreg[72]
v_accvgpr_read_b32 v[vgprValuC+25], acc100 // copy acc to vreg[73]
v_accvgpr_read_b32 v[vgprValuC+26], acc37 // copy acc to vreg[74]
v_accvgpr_read_b32 v[vgprValuC+27], acc101 // copy acc to vreg[75]
v_accvgpr_read_b32 v[vgprValuC+28], acc38 // copy acc to vreg[76]
v_accvgpr_read_b32 v[vgprValuC+29], acc102 // copy acc to vreg[77]
v_accvgpr_read_b32 v[vgprValuC+30], acc39 // copy acc to vreg[78]
v_accvgpr_read_b32 v[vgprValuC+31], acc103 // copy acc to vreg[79]
v_accvgpr_read_b32 v[vgprValuC+32], acc40 // copy acc to vreg[80]
v_accvgpr_read_b32 v[vgprValuC+33], acc104 // copy acc to vreg[81]
v_accvgpr_read_b32 v[vgprValuC+34], acc41 // copy acc to vreg[82]
v_accvgpr_read_b32 v[vgprValuC+35], acc105 // copy acc to vreg[83]
v_accvgpr_read_b32 v[vgprValuC+36], acc42 // copy acc to vreg[84]
v_accvgpr_read_b32 v[vgprValuC+37], acc106 // copy acc to vreg[85]
v_accvgpr_read_b32 v[vgprValuC+38], acc43 // copy acc to vreg[86]
v_accvgpr_read_b32 v[vgprValuC+39], acc107 // copy acc to vreg[87]
v_accvgpr_read_b32 v[vgprValuC+44], acc44 // copy acc to vreg[88]
v_accvgpr_read_b32 v[vgprValuC+45], acc108 // copy acc to vreg[89]
v_accvgpr_read_b32 v[vgprValuC+46], acc45 // copy acc to vreg[90]
v_accvgpr_read_b32 v[vgprValuC+47], acc109 // copy acc to vreg[91]
v_accvgpr_read_b32 v[vgprValuC+48], acc46 // copy acc to vreg[92]
v_accvgpr_read_b32 v[vgprValuC+49], acc110 // copy acc to vreg[93]
v_accvgpr_read_b32 v[vgprValuC+50], acc47 // copy acc to vreg[94]
v_accvgpr_read_b32 v[vgprValuC+51], acc111 // copy acc to vreg[95]
s_nop 1                                            // 2 wait states required before reading vgpr

/* apply mask, calc new C and issue writes */

/* StoreRemap: shift coord1 address */
s_mul_i32 s56, s[sgprStrideD1J], 256               // scale StrideD *= numRows(32) * bpe
s_add_u32  s[sgprSrdD+0], s[sgprSrdD+0], s56       // incToNextRow: gra SRD += inc(lower)
s_addc_u32  s[sgprSrdD+1], s[sgprSrdD+1], 0        // incToNextRow: gra SRD += inc(upper)
v_mov_b32 v10, 32                                  // set shift rows
_v_add_u32 v5, v5, v10                             // shift storeRemap coord1
_ds_store_b128 v7, v[16:19], offset:0              // storeRemap lw
_ds_store_b128 v7, v[20:23], offset:16             // storeRemap lw
_ds_store_b128 v7, v[24:27], offset:64             // storeRemap lw
	;; [unrolled: 1-line block ×3, first 2 shown]
_ds_store_b128 v7, v[32:35], offset:128            // storeRemap lw
_ds_store_b128 v7, v[36:39], offset:144            // storeRemap lw
	;; [unrolled: 1-line block ×4, first 2 shown]

/* Handle local read and global write */
s_waitcnt lgkmcnt(0)                               // wait for LDS write
s_barrier //wait all lds write finished

_ds_load_b128 v[16:19], v8, offset:0               // storeRemap lr
_ds_load_b128 v[20:23], v8, offset:1056            // storeRemap lr
_ds_load_b128 v[24:27], v8, offset:2112            // storeRemap lr
_ds_load_b128 v[28:31], v8, offset:3168            // storeRemap lr
_ds_load_b128 v[32:35], v8, offset:4224            // storeRemap lr
_ds_load_b128 v[36:39], v8, offset:5280            // storeRemap lr
_ds_load_b128 v[44:47], v8, offset:6336            // storeRemap lr
_ds_load_b128 v[48:51], v8, offset:7392            // storeRemap lr

v_mov_b32 v13, v6                                  // coord1
v_mul_lo_u32 v13, v13, s[sgprStrideD1J]            // coord1 offset =  coord1 * StrideD
_v_add_lshl_u32 v13, v13, v4, 0x3                  // global write D address
s_waitcnt lgkmcnt(7)                               // wait for LDS read
_buffer_store_b128 v[16:19], v13, s[sgprSrdD:sgprSrdD+3], 0, offen, offset:0 // store D
_v_add_u32 v13, v6, 1                              // coord1 += nColPerLoad
v_mul_lo_u32 v13, v13, s[sgprStrideD1J]            // coord1 offset =  coord1 * StrideD
_v_add_lshl_u32 v13, v13, v4, 0x3                  // global write D address
s_waitcnt lgkmcnt(6)                               // wait for LDS read
_buffer_store_b128 v[20:23], v13, s[sgprSrdD:sgprSrdD+3], 0, offen, offset:0 // store D
_v_add_u32 v13, v6, 2                              // coord1 += nColPerLoad
	;; [unrolled: 5-line block ×7, first 2 shown]
v_mul_lo_u32 v13, v13, s[sgprStrideD1J]            // coord1 offset =  coord1 * StrideD
_v_add_lshl_u32 v13, v13, v4, 0x3                  // global write D address
s_waitcnt lgkmcnt(0)                               // wait for LDS read
_buffer_store_b128 v[48:51], v13, s[sgprSrdD:sgprSrdD+3], 0, offen, offset:0 // store D

s_barrier //wait all lds read finished
s_nop 0                                            // 1 wait state required when next inst writes vgprs held by previous dwordx4 store inst
/* optSingleColVgpr=1 optSharedColVgpr=0 optSGPRUsage=BufferLoad_Mask optSrdIncForRow=1 */

/******************************************/
/* Global Write Batch #3 (d1,d0,vc1,vc0) = */
/*    (3,0,0,0:vw2); (3,0,0,2:vw2); (3,1,0,0:vw2); (3,1,0,2:vw2); (3,2,0,0:vw2); (3,2,0,2:vw2); (3,3,0,0:vw2); (3,3,0,2:vw2) */
/******************************************/

/* calc coords, apply mask, and issue loads (if necessary) */
/* (d1,vc1,d0,vc0)=(3,0,0,0) */
/* (d1,vc1,d0,vc0)=(3,0,0,2) */
	;; [unrolled: 1-line block ×8, first 2 shown]
v_accvgpr_read_b32 v[vgprValuC+16], acc48 // copy acc to vreg[96]
v_accvgpr_read_b32 v[vgprValuC+17], acc112 // copy acc to vreg[97]
v_accvgpr_read_b32 v[vgprValuC+18], acc49 // copy acc to vreg[98]
v_accvgpr_read_b32 v[vgprValuC+19], acc113 // copy acc to vreg[99]
v_accvgpr_read_b32 v[vgprValuC+20], acc50 // copy acc to vreg[100]
v_accvgpr_read_b32 v[vgprValuC+21], acc114 // copy acc to vreg[101]
v_accvgpr_read_b32 v[vgprValuC+22], acc51 // copy acc to vreg[102]
v_accvgpr_read_b32 v[vgprValuC+23], acc115 // copy acc to vreg[103]
v_accvgpr_read_b32 v[vgprValuC+24], acc52 // copy acc to vreg[104]
v_accvgpr_read_b32 v[vgprValuC+25], acc116 // copy acc to vreg[105]
v_accvgpr_read_b32 v[vgprValuC+26], acc53 // copy acc to vreg[106]
v_accvgpr_read_b32 v[vgprValuC+27], acc117 // copy acc to vreg[107]
v_accvgpr_read_b32 v[vgprValuC+28], acc54 // copy acc to vreg[108]
v_accvgpr_read_b32 v[vgprValuC+29], acc118 // copy acc to vreg[109]
v_accvgpr_read_b32 v[vgprValuC+30], acc55 // copy acc to vreg[110]
v_accvgpr_read_b32 v[vgprValuC+31], acc119 // copy acc to vreg[111]
v_accvgpr_read_b32 v[vgprValuC+32], acc56 // copy acc to vreg[112]
v_accvgpr_read_b32 v[vgprValuC+33], acc120 // copy acc to vreg[113]
v_accvgpr_read_b32 v[vgprValuC+34], acc57 // copy acc to vreg[114]
v_accvgpr_read_b32 v[vgprValuC+35], acc121 // copy acc to vreg[115]
v_accvgpr_read_b32 v[vgprValuC+36], acc58 // copy acc to vreg[116]
v_accvgpr_read_b32 v[vgprValuC+37], acc122 // copy acc to vreg[117]
v_accvgpr_read_b32 v[vgprValuC+38], acc59 // copy acc to vreg[118]
v_accvgpr_read_b32 v[vgprValuC+39], acc123 // copy acc to vreg[119]
v_accvgpr_read_b32 v[vgprValuC+44], acc60 // copy acc to vreg[120]
v_accvgpr_read_b32 v[vgprValuC+45], acc124 // copy acc to vreg[121]
v_accvgpr_read_b32 v[vgprValuC+46], acc61 // copy acc to vreg[122]
v_accvgpr_read_b32 v[vgprValuC+47], acc125 // copy acc to vreg[123]
v_accvgpr_read_b32 v[vgprValuC+48], acc62 // copy acc to vreg[124]
v_accvgpr_read_b32 v[vgprValuC+49], acc126 // copy acc to vreg[125]
v_accvgpr_read_b32 v[vgprValuC+50], acc63 // copy acc to vreg[126]
v_accvgpr_read_b32 v[vgprValuC+51], acc127 // copy acc to vreg[127]
s_nop 1                                            // 2 wait states required before reading vgpr

/* apply mask, calc new C and issue writes */

/* StoreRemap: shift coord1 address */
s_mul_i32 s56, s[sgprStrideD1J], 256               // scale StrideD *= numRows(32) * bpe
s_add_u32  s[sgprSrdD+0], s[sgprSrdD+0], s56       // incToNextRow: gra SRD += inc(lower)
s_addc_u32  s[sgprSrdD+1], s[sgprSrdD+1], 0        // incToNextRow: gra SRD += inc(upper)
v_mov_b32 v10, 32                                  // set shift rows
_v_add_u32 v5, v5, v10                             // shift storeRemap coord1
_ds_store_b128 v7, v[16:19], offset:0              // storeRemap lw
_ds_store_b128 v7, v[20:23], offset:16             // storeRemap lw
_ds_store_b128 v7, v[24:27], offset:64             // storeRemap lw
	;; [unrolled: 1-line block ×3, first 2 shown]
_ds_store_b128 v7, v[32:35], offset:128            // storeRemap lw
_ds_store_b128 v7, v[36:39], offset:144            // storeRemap lw
	;; [unrolled: 1-line block ×4, first 2 shown]

/* Handle local read and global write */
s_waitcnt lgkmcnt(0)                               // wait for LDS write
s_barrier //wait all lds write finished

_ds_load_b128 v[16:19], v8, offset:0               // storeRemap lr
_ds_load_b128 v[20:23], v8, offset:1056            // storeRemap lr
_ds_load_b128 v[24:27], v8, offset:2112            // storeRemap lr
	;; [unrolled: 1-line block ×7, first 2 shown]

v_mov_b32 v13, v6                                  // coord1
v_mul_lo_u32 v13, v13, s[sgprStrideD1J]            // coord1 offset =  coord1 * StrideD
_v_add_lshl_u32 v13, v13, v4, 0x3                  // global write D address
s_waitcnt lgkmcnt(7)                               // wait for LDS read
_buffer_store_b128 v[16:19], v13, s[sgprSrdD:sgprSrdD+3], 0, offen, offset:0 // store D
_v_add_u32 v13, v6, 1                              // coord1 += nColPerLoad
v_mul_lo_u32 v13, v13, s[sgprStrideD1J]            // coord1 offset =  coord1 * StrideD
_v_add_lshl_u32 v13, v13, v4, 0x3                  // global write D address
s_waitcnt lgkmcnt(6)                               // wait for LDS read
_buffer_store_b128 v[20:23], v13, s[sgprSrdD:sgprSrdD+3], 0, offen, offset:0 // store D
_v_add_u32 v13, v6, 2                              // coord1 += nColPerLoad
	;; [unrolled: 5-line block ×7, first 2 shown]
v_mul_lo_u32 v13, v13, s[sgprStrideD1J]            // coord1 offset =  coord1 * StrideD
_v_add_lshl_u32 v13, v13, v4, 0x3                  // global write D address
s_waitcnt lgkmcnt(0)                               // wait for LDS read
_buffer_store_b128 v[48:51], v13, s[sgprSrdD:sgprSrdD+3], 0, offen, offset:0 // store D

s_barrier //wait all lds read finished
s_nop 0                                            // 1 wait state required when next inst writes vgprs held by previous dwordx4 store inst
s_branch label_GW_End_21                           // jump to end
label_GW_End_21:

s_endpgm                                           // Kernel End
OptNLL_End_15:


/******************************************/
/* Ord. NoLoadLoop - Begin                                      */
/******************************************/


	;; [unrolled: 1-line block ×4, first 2 shown]
/* iter 0 (last unrolled loop) */

/*  grEndMfmaIndex:0, lwStartMfmaIndex:59, lwEndMfmaIndex:59  */
/*  numMfmaForLR:2, barrierMfmaIndex:61 */
/*  mfmaIndex:0  */
s_waitcnt lgkmcnt(0)                               // lgkmcnt=0 vmcnt=-1wait for prior local read local write old=0, new=0 newLW=0 newLR=0
v_add_f32 v43, -v[vgprValuA_X0_I0+0+0+0+1], 0      // Ai=-Ai
v_mfma_f32_32x32x2f32 a[0+0:15+0], v[vgprValuA_X0_I0+0+0+0], v[vgprValuB_X0_I0+0+0+0], a[0:15]
 // Cr += Ar*Br
/*  mfmaIndex:1  */
_ds_load_b64 v[vgprValuA_X1_I0+0:vgprValuA_X1_I0+0+1], v[vgprLocalReadAddrA] offset:2080 // L -> Reg lro=260 swapByteOffset=0 ti=128 vIdx=0 rIdx=0 oIdx=0 buffer=1 iui=0
_ds_load_b64 v[vgprValuB_X1_I0+0:vgprValuB_X1_I0+0+1], v[vgprLocalReadAddrB] offset:2080 // L -> Reg lro=260 swapByteOffset=0 ti=32 vIdx=0 rIdx=0 oIdx=0 buffer=1 iui=0
_ds_load_b64 v[vgprValuB_X1_I0+2:vgprValuB_X1_I0+2+1], v[vgprLocalReadAddrB] offset:2336 // L -> Reg lro=260 swapByteOffset=0 ti=32 vIdx=1 rIdx=0 oIdx=0 buffer=1 iui=0
	;; [unrolled: 1-line block ×4, first 2 shown]
/* localReadsVacancy: latencyLeft 3 */
v_mfma_f32_32x32x2f32 a[64+0:79+0], v[vgprValuA_X0_I0+0+0+0+1], v[vgprValuB_X0_I0+0+0+0], a[64:79]
 // Ci += Ai*Br
/*  mfmaIndex:2  */
/* localReadsVacancy: latencyLeft 13 */
v_mfma_f32_32x32x2f32 a[0+0:15+0], v43, v[vgprValuB_X0_I0+0+0+0+1], a[0:15]
 // Cr += -Ai*Bi
/*  mfmaIndex:3  */
/* localReadsVacancy: latencyLeft 13 */
v_mfma_f32_32x32x2f32 a[64+0:79+0], v[vgprValuA_X0_I0+0+0+0], v[vgprValuB_X0_I0+0+0+0+1], a[64:79]
 // Ci += Ar*Bi
/*  mfmaIndex:4  */
/* localReadsVacancy: latencyLeft 13 */
v_mfma_f32_32x32x2f32 a[16+0:31+0], v[vgprValuA_X0_I0+0+0+0], v[vgprValuB_X0_I0+2+0+0], a[16:31]
 // Cr += Ar*Br
/*  mfmaIndex:5  */
/* localReadsVacancy: latencyLeft 13 */
v_mfma_f32_32x32x2f32 a[80+0:95+0], v[vgprValuA_X0_I0+0+0+0+1], v[vgprValuB_X0_I0+2+0+0], a[80:95]
 // Ci += Ai*Br
/*  mfmaIndex:6  */
/* localReadsVacancy: latencyLeft 13 */
v_mfma_f32_32x32x2f32 a[16+0:31+0], v43, v[vgprValuB_X0_I0+2+0+0+1], a[16:31]
 // Cr += -Ai*Bi
/*  mfmaIndex:7  */
/* localReadsVacancy: latencyLeft 13 */
v_mfma_f32_32x32x2f32 a[80+0:95+0], v[vgprValuA_X0_I0+0+0+0], v[vgprValuB_X0_I0+2+0+0+1], a[80:95]
 // Ci += Ar*Bi
/*  mfmaIndex:8  */
/* localReadsVacancy: latencyLeft 13 */
v_mfma_f32_32x32x2f32 a[32+0:47+0], v[vgprValuA_X0_I0+0+0+0], v[vgprValuB_X0_I0+4+0+0], a[32:47]
 // Cr += Ar*Br
/*  mfmaIndex:9  */
	;; [unrolled: 16-line block ×3, first 2 shown]
/* localReadsVacancy: latencyLeft 13 */
v_mfma_f32_32x32x2f32 a[112+0:127+0], v[vgprValuA_X0_I0+0+0+0+1], v[vgprValuB_X0_I0+6+0+0], a[112:127]
 // Ci += Ai*Br
/*  mfmaIndex:14  */
/* localReadsVacancy: latencyLeft 13 */
v_mfma_f32_32x32x2f32 a[48+0:63+0], v43, v[vgprValuB_X0_I0+6+0+0+1], a[48:63]
 // Cr += -Ai*Bi
/*  mfmaIndex:15  */
/* localReadsVacancy: latencyLeft 13 */
v_mfma_f32_32x32x2f32 a[112+0:127+0], v[vgprValuA_X0_I0+0+0+0], v[vgprValuB_X0_I0+6+0+0+1], a[112:127]
 // Ci += Ar*Bi
/* numPrefetchIter=0 */
/* dataAtIterA=-1 numReadsIterA=1 skipReadsIterA=1 readsPerIterA=1 */
/* dataAtIterB=-1 numReadsIterB=1 skipReadsIterB=1 readsPerIterB=4 */


/* iter 1 (last unrolled loop) */

/*  grEndMfmaIndex:0, lwStartMfmaIndex:59, lwEndMfmaIndex:59  */
/*  numMfmaForLR:2, barrierMfmaIndex:61 */
/*  mfmaIndex:16  */
_ds_load_b64 v[vgprValuA_X0_I0+0:vgprValuA_X0_I0+0+1], v[vgprLocalReadAddrA] offset:4160 // L -> Reg lro=520 swapByteOffset=0 ti=128 vIdx=0 rIdx=0 oIdx=0 buffer=0 iui=0
_ds_load_b64 v[vgprValuB_X0_I0+0:vgprValuB_X0_I0+0+1], v[vgprLocalReadAddrB] offset:4160 // L -> Reg lro=520 swapByteOffset=0 ti=32 vIdx=0 rIdx=0 oIdx=0 buffer=0 iui=0
_ds_load_b64 v[vgprValuB_X0_I0+2:vgprValuB_X0_I0+2+1], v[vgprLocalReadAddrB] offset:4416 // L -> Reg lro=520 swapByteOffset=0 ti=32 vIdx=1 rIdx=0 oIdx=0 buffer=0 iui=0
	;; [unrolled: 1-line block ×4, first 2 shown]
/* localReadsVacancy: latencyLeft 3 */
s_waitcnt lgkmcnt(5)                               // lgkmcnt=0 vmcnt=-1wait for prior local read local write old=0, new=5 newLW=0 newLR=5
v_add_f32 v43, -v[vgprValuA_X1_I0+0+0+0+1], 0      // Ai=-Ai
v_mfma_f32_32x32x2f32 a[0+0:15+0], v[vgprValuA_X1_I0+0+0+0], v[vgprValuB_X1_I0+0+0+0], a[0:15]
 // Cr += Ar*Br
/*  mfmaIndex:17  */
/* localReadsVacancy: latencyLeft 13 */
v_mfma_f32_32x32x2f32 a[64+0:79+0], v[vgprValuA_X1_I0+0+0+0+1], v[vgprValuB_X1_I0+0+0+0], a[64:79]
 // Ci += Ai*Br
/*  mfmaIndex:18  */
/* localReadsVacancy: latencyLeft 13 */
v_mfma_f32_32x32x2f32 a[0+0:15+0], v43, v[vgprValuB_X1_I0+0+0+0+1], a[0:15]
 // Cr += -Ai*Bi
/*  mfmaIndex:19  */
/* localReadsVacancy: latencyLeft 13 */
v_mfma_f32_32x32x2f32 a[64+0:79+0], v[vgprValuA_X1_I0+0+0+0], v[vgprValuB_X1_I0+0+0+0+1], a[64:79]
 // Ci += Ar*Bi
/*  mfmaIndex:20  */
/* localReadsVacancy: latencyLeft 13 */
v_mfma_f32_32x32x2f32 a[16+0:31+0], v[vgprValuA_X1_I0+0+0+0], v[vgprValuB_X1_I0+2+0+0], a[16:31]
 // Cr += Ar*Br
/*  mfmaIndex:21  */
/* localReadsVacancy: latencyLeft 13 */
v_mfma_f32_32x32x2f32 a[80+0:95+0], v[vgprValuA_X1_I0+0+0+0+1], v[vgprValuB_X1_I0+2+0+0], a[80:95]
 // Ci += Ai*Br
/*  mfmaIndex:22  */
/* localReadsVacancy: latencyLeft 13 */
v_mfma_f32_32x32x2f32 a[16+0:31+0], v43, v[vgprValuB_X1_I0+2+0+0+1], a[16:31]
 // Cr += -Ai*Bi
/*  mfmaIndex:23  */
/* localReadsVacancy: latencyLeft 13 */
v_mfma_f32_32x32x2f32 a[80+0:95+0], v[vgprValuA_X1_I0+0+0+0], v[vgprValuB_X1_I0+2+0+0+1], a[80:95]
 // Ci += Ar*Bi
/*  mfmaIndex:24  */
/* localReadsVacancy: latencyLeft 13 */
	;; [unrolled: 16-line block ×3, first 2 shown]
v_mfma_f32_32x32x2f32 a[48+0:63+0], v[vgprValuA_X1_I0+0+0+0], v[vgprValuB_X1_I0+6+0+0], a[48:63]
 // Cr += Ar*Br
/*  mfmaIndex:29  */
/* localReadsVacancy: latencyLeft 13 */
v_mfma_f32_32x32x2f32 a[112+0:127+0], v[vgprValuA_X1_I0+0+0+0+1], v[vgprValuB_X1_I0+6+0+0], a[112:127]
 // Ci += Ai*Br
/*  mfmaIndex:30  */
/* localReadsVacancy: latencyLeft 13 */
v_mfma_f32_32x32x2f32 a[48+0:63+0], v43, v[vgprValuB_X1_I0+6+0+0+1], a[48:63]
 // Cr += -Ai*Bi
/*  mfmaIndex:31  */
/* localReadsVacancy: latencyLeft 13 */
v_mfma_f32_32x32x2f32 a[112+0:127+0], v[vgprValuA_X1_I0+0+0+0], v[vgprValuB_X1_I0+6+0+0+1], a[112:127]
 // Ci += Ar*Bi
/* numPrefetchIter=0 */
/* dataAtIterA=0 numReadsIterA=2 skipReadsIterA=1 readsPerIterA=1 */
/* dataAtIterB=0 numReadsIterB=2 skipReadsIterB=1 readsPerIterB=4 */


/* iter 2 (last unrolled loop) */

/*  grEndMfmaIndex:0, lwStartMfmaIndex:59, lwEndMfmaIndex:59  */
/*  numMfmaForLR:2, barrierMfmaIndex:61 */
/*  mfmaIndex:32  */
_ds_load_b64 v[vgprValuA_X1_I0+0:vgprValuA_X1_I0+0+1], v[vgprLocalReadAddrA] offset:6240 // L -> Reg lro=780 swapByteOffset=0 ti=128 vIdx=0 rIdx=0 oIdx=0 buffer=1 iui=0
_ds_load_b64 v[vgprValuB_X1_I0+0:vgprValuB_X1_I0+0+1], v[vgprLocalReadAddrB] offset:6240 // L -> Reg lro=780 swapByteOffset=0 ti=32 vIdx=0 rIdx=0 oIdx=0 buffer=1 iui=0
_ds_load_b64 v[vgprValuB_X1_I0+2:vgprValuB_X1_I0+2+1], v[vgprLocalReadAddrB] offset:6496 // L -> Reg lro=780 swapByteOffset=0 ti=32 vIdx=1 rIdx=0 oIdx=0 buffer=1 iui=0
	;; [unrolled: 1-line block ×4, first 2 shown]
/* localReadsVacancy: latencyLeft 3 */
s_waitcnt lgkmcnt(5)                               // lgkmcnt=0 vmcnt=-1wait for prior local read local write old=0, new=5 newLW=0 newLR=5
v_add_f32 v43, -v[vgprValuA_X0_I0+0+0+0+1], 0      // Ai=-Ai
v_mfma_f32_32x32x2f32 a[0+0:15+0], v[vgprValuA_X0_I0+0+0+0], v[vgprValuB_X0_I0+0+0+0], a[0:15]
 // Cr += Ar*Br
/*  mfmaIndex:33  */
/* localReadsVacancy: latencyLeft 13 */
v_mfma_f32_32x32x2f32 a[64+0:79+0], v[vgprValuA_X0_I0+0+0+0+1], v[vgprValuB_X0_I0+0+0+0], a[64:79]
 // Ci += Ai*Br
/*  mfmaIndex:34  */
/* localReadsVacancy: latencyLeft 13 */
v_mfma_f32_32x32x2f32 a[0+0:15+0], v43, v[vgprValuB_X0_I0+0+0+0+1], a[0:15]
 // Cr += -Ai*Bi
/*  mfmaIndex:35  */
/* localReadsVacancy: latencyLeft 13 */
v_mfma_f32_32x32x2f32 a[64+0:79+0], v[vgprValuA_X0_I0+0+0+0], v[vgprValuB_X0_I0+0+0+0+1], a[64:79]
 // Ci += Ar*Bi
/*  mfmaIndex:36  */
/* localReadsVacancy: latencyLeft 13 */
v_mfma_f32_32x32x2f32 a[16+0:31+0], v[vgprValuA_X0_I0+0+0+0], v[vgprValuB_X0_I0+2+0+0], a[16:31]
 // Cr += Ar*Br
/*  mfmaIndex:37  */
/* localReadsVacancy: latencyLeft 13 */
v_mfma_f32_32x32x2f32 a[80+0:95+0], v[vgprValuA_X0_I0+0+0+0+1], v[vgprValuB_X0_I0+2+0+0], a[80:95]
 // Ci += Ai*Br
/*  mfmaIndex:38  */
/* localReadsVacancy: latencyLeft 13 */
v_mfma_f32_32x32x2f32 a[16+0:31+0], v43, v[vgprValuB_X0_I0+2+0+0+1], a[16:31]
 // Cr += -Ai*Bi
/*  mfmaIndex:39  */
/* localReadsVacancy: latencyLeft 13 */
v_mfma_f32_32x32x2f32 a[80+0:95+0], v[vgprValuA_X0_I0+0+0+0], v[vgprValuB_X0_I0+2+0+0+1], a[80:95]
 // Ci += Ar*Bi
/*  mfmaIndex:40  */
/* localReadsVacancy: latencyLeft 13 */
	;; [unrolled: 16-line block ×3, first 2 shown]
v_mfma_f32_32x32x2f32 a[48+0:63+0], v[vgprValuA_X0_I0+0+0+0], v[vgprValuB_X0_I0+6+0+0], a[48:63]
 // Cr += Ar*Br
/*  mfmaIndex:45  */
/* localReadsVacancy: latencyLeft 13 */
v_mfma_f32_32x32x2f32 a[112+0:127+0], v[vgprValuA_X0_I0+0+0+0+1], v[vgprValuB_X0_I0+6+0+0], a[112:127]
 // Ci += Ai*Br
/*  mfmaIndex:46  */
/* localReadsVacancy: latencyLeft 13 */
v_mfma_f32_32x32x2f32 a[48+0:63+0], v43, v[vgprValuB_X0_I0+6+0+0+1], a[48:63]
 // Cr += -Ai*Bi
/*  mfmaIndex:47  */
/* localReadsVacancy: latencyLeft 13 */
v_mfma_f32_32x32x2f32 a[112+0:127+0], v[vgprValuA_X0_I0+0+0+0], v[vgprValuB_X0_I0+6+0+0+1], a[112:127]
 // Ci += Ar*Bi
/* numPrefetchIter=0 */
/* dataAtIterA=1 numReadsIterA=3 skipReadsIterA=1 readsPerIterA=1 */
/* dataAtIterB=1 numReadsIterB=3 skipReadsIterB=1 readsPerIterB=4 */


/* iter 3 (last unrolled loop) */

/*  grEndMfmaIndex:0, lwStartMfmaIndex:59, lwEndMfmaIndex:59  */
/*  numMfmaForLR:2, barrierMfmaIndex:61 */
/*  mfmaIndex:48  */
s_waitcnt lgkmcnt(0)                               // lgkmcnt=0 vmcnt=-1wait for prior local read local write old=0, new=0 newLW=0 newLR=0
v_add_f32 v43, -v[vgprValuA_X1_I0+0+0+0+1], 0      // Ai=-Ai
v_mfma_f32_32x32x2f32 a[0+0:15+0], v[vgprValuA_X1_I0+0+0+0], v[vgprValuB_X1_I0+0+0+0], a[0:15]
 // Cr += Ar*Br
/*  mfmaIndex:49  */
v_mfma_f32_32x32x2f32 a[64+0:79+0], v[vgprValuA_X1_I0+0+0+0+1], v[vgprValuB_X1_I0+0+0+0], a[64:79]
 // Ci += Ai*Br
/*  mfmaIndex:50  */
v_mfma_f32_32x32x2f32 a[0+0:15+0], v43, v[vgprValuB_X1_I0+0+0+0+1], a[0:15]
 // Cr += -Ai*Bi
/*  mfmaIndex:51  */
v_mfma_f32_32x32x2f32 a[64+0:79+0], v[vgprValuA_X1_I0+0+0+0], v[vgprValuB_X1_I0+0+0+0+1], a[64:79]
 // Ci += Ar*Bi
/*  mfmaIndex:52  */
v_mfma_f32_32x32x2f32 a[16+0:31+0], v[vgprValuA_X1_I0+0+0+0], v[vgprValuB_X1_I0+2+0+0], a[16:31]
 // Cr += Ar*Br
/*  mfmaIndex:53  */
v_mfma_f32_32x32x2f32 a[80+0:95+0], v[vgprValuA_X1_I0+0+0+0+1], v[vgprValuB_X1_I0+2+0+0], a[80:95]
 // Ci += Ai*Br
/*  mfmaIndex:54  */
v_mfma_f32_32x32x2f32 a[16+0:31+0], v43, v[vgprValuB_X1_I0+2+0+0+1], a[16:31]
 // Cr += -Ai*Bi
/*  mfmaIndex:55  */
v_mfma_f32_32x32x2f32 a[80+0:95+0], v[vgprValuA_X1_I0+0+0+0], v[vgprValuB_X1_I0+2+0+0+1], a[80:95]
 // Ci += Ar*Bi
/*  mfmaIndex:56  */
	;; [unrolled: 12-line block ×3, first 2 shown]
v_mfma_f32_32x32x2f32 a[48+0:63+0], v[vgprValuA_X1_I0+0+0+0], v[vgprValuB_X1_I0+6+0+0], a[48:63]
 // Cr += Ar*Br
/*  mfmaIndex:61  */
v_mfma_f32_32x32x2f32 a[112+0:127+0], v[vgprValuA_X1_I0+0+0+0+1], v[vgprValuB_X1_I0+6+0+0], a[112:127]
 // Ci += Ai*Br
/*  mfmaIndex:62  */
v_mfma_f32_32x32x2f32 a[48+0:63+0], v43, v[vgprValuB_X1_I0+6+0+0+1], a[48:63]
 // Cr += -Ai*Bi
/*  mfmaIndex:63  */
v_mfma_f32_32x32x2f32 a[112+0:127+0], v[vgprValuA_X1_I0+0+0+0], v[vgprValuB_X1_I0+6+0+0+1], a[112:127]
 // Ci += Ar*Bi
/* numPrefetchIter=0 */
/* dataAtIterA=2 numReadsIterA=3 skipReadsIterA=0 readsPerIterA=1 */
/* dataAtIterB=2 numReadsIterB=3 skipReadsIterB=0 readsPerIterB=4 */

PrefetchGlobalLastIterEnd_5:


/******************************************/
/* Tail Loop                              */
/******************************************/


/* local write reset offsets a */


v_and_b32 v[vgprLocalWriteAddrA], 0xf07fff, v[vgprLocalWriteAddrA] // reset to Red


/* local write reset offsets b */


v_and_b32 v[vgprLocalWriteAddrB], 0xf07fff, v[vgprLocalWriteAddrB] // reset to Red


//numIterL = (((sizeL % LOCAL_DEPTHU) + LOCAL_SPLITU - 1) / LOCAL_SPLITU)
s_and_b32 s[sgprLoopCounterL], 7, s[sgprSizesSum+0] // s[sgprLoopCounterL] = s[sgprSizesSum+0] % 8
s_cmp_eq_u32 s[sgprLoopCounterL], 0x0              // numIterL == 0
s_cbranch_scc1 SkipTailLoopL_8                     // skip to end of tail loop b/c numIter==0
s_mov_b32 s[sgprOrigLoopCounter], 0                // repurpose to count each localRead increment


/* remove stagger offsets for tail loop */

s_mov_b32 s68, 3                                   // 
s_mul_hi_u32 s67, s68, s[sgprGlobalReadIncsA+0]    // 3 * GlobalReadIncs
s_mul_i32 s66, s68, s[sgprGlobalReadIncsA+0]       // 3 * GlobalReadIncs
s_mul_hi_u32 s69, s[sgprStaggerUIter], s[sgprGlobalReadIncsA+0] // StaggerUIter * GlobalReadIncs
s_mul_i32 s68, s[sgprStaggerUIter], s[sgprGlobalReadIncsA+0] // StaggerUIter * GlobalReadIncs
s_sub_u32 s66, s66, s68                            // start offset S in bytes
s_subb_u32 s67, s67, s69                           // start offset S in bytes
s_sub_u32 s66, s66, s[sgprWrapUA]                  // S - WrapU
s_subb_u32 s67, s67, s[sgprWrapUA+1]               // S - WrapU
s_add_u32 s[sgprSrdA+0], s[sgprSrdA+0], s66        // gra SRD += inc(lower)
s_addc_u32  s[sgprSrdA+1], s[sgprSrdA+1], s67      // gra SRD += inc(upper)
s_sub_u32 s[sgprShadowLimitA+0], s[sgprShadowLimitA+0], s66 // limit -= inc)
s_subb_u32 s[sgprShadowLimitA+1], s[sgprShadowLimitA+1], s67 // limit -= inc)
s_cmp_eq_u32 s[sgprShadowLimitA+1], 0              // are we within 2^32?
s_cselect_b32 s[sgprSrdA+2], s[sgprShadowLimitA+0], BufferLimitA // Move shadow to real if we are within 2^32

s_mov_b32 s68, 3                                   // 
s_mul_hi_u32 s67, s68, s[sgprGlobalReadIncsB+0]    // 3 * GlobalReadIncs
s_mul_i32 s66, s68, s[sgprGlobalReadIncsB+0]       // 3 * GlobalReadIncs
s_mul_hi_u32 s69, s[sgprStaggerUIter], s[sgprGlobalReadIncsB+0] // StaggerUIter * GlobalReadIncs
s_mul_i32 s68, s[sgprStaggerUIter], s[sgprGlobalReadIncsB+0] // StaggerUIter * GlobalReadIncs
s_sub_u32 s66, s66, s68                            // start offset S in bytes
s_subb_u32 s67, s67, s69                           // start offset S in bytes
s_sub_u32 s66, s66, s[sgprWrapUB]                  // S - WrapU
s_subb_u32 s67, s67, s[sgprWrapUB+1]               // S - WrapU
s_add_u32 s[sgprSrdB+0], s[sgprSrdB+0], s66        // gra SRD += inc(lower)
s_addc_u32  s[sgprSrdB+1], s[sgprSrdB+1], s67      // gra SRD += inc(upper)
s_sub_u32 s[sgprShadowLimitB+0], s[sgprShadowLimitB+0], s66 // limit -= inc)
s_subb_u32 s[sgprShadowLimitB+1], s[sgprShadowLimitB+1], s67 // limit -= inc)
s_cmp_eq_u32 s[sgprShadowLimitB+1], 0              // are we within 2^32?
s_cselect_b32 s[sgprSrdB+2], s[sgprShadowLimitB+0], BufferLimitB // Move shadow to real if we are within 2^32


/* Update M0 for DTLDS */


	;; [unrolled: 1-line block ×3, first 2 shown]
/* global read a */

/* g2l=0, load component 0 */
_buffer_load_b64 v[vgprG2LA+0+0:vgprG2LA+0+0+1], v[vgprGlobalReadOffsetA+0], s[sgprSrdA:sgprSrdA+3], 0, offen offset:0 // load one buffer value
/* g2l=2, load component 0 */
_buffer_load_b64 v[vgprG2LA+2+0:vgprG2LA+2+0+1], v[vgprGlobalReadOffsetA+0], s[sgprSrdA:sgprSrdA+3], s[sgprScalarGlobalReadOffsetA+0], offen offset:0 // load one buffer value
/* g2l=4, load component 0 */
_buffer_load_b64 v[vgprG2LA+4+0:vgprG2LA+4+0+1], v[vgprGlobalReadOffsetA+0], s[sgprSrdA:sgprSrdA+3], s[sgprScalarGlobalReadOffsetA+1], offen offset:0 // load one buffer value
	;; [unrolled: 2-line block ×3, first 2 shown]


/* Update M0 for DTLDS */


	;; [unrolled: 1-line block ×3, first 2 shown]
/* global read b */

/* g2l=0, load component 0 */
_buffer_load_b64 v[vgprG2LB+0+0:vgprG2LB+0+0+1], v[vgprGlobalReadOffsetB+0], s[sgprSrdB:sgprSrdB+3], 0, offen offset:0 // load one buffer value
/* g2l=2, load component 0 */
_buffer_load_b64 v[vgprG2LB+2+0:vgprG2LB+2+0+1], v[vgprGlobalReadOffsetB+0], s[sgprSrdB:sgprSrdB+3], s[sgprScalarGlobalReadOffsetB+0], offen offset:0 // load one buffer value
/* g2l=4, load component 0 */
_buffer_load_b64 v[vgprG2LB+4+0:vgprG2LB+4+0+1], v[vgprGlobalReadOffsetB+0], s[sgprSrdB:sgprSrdB+3], s[sgprScalarGlobalReadOffsetB+1], offen offset:0 // load one buffer value
	;; [unrolled: 2-line block ×3, first 2 shown]

s_waitcnt vmcnt(0)                                 // lgkmcnt=-1 vmcnt=02wait for global read

s_waitcnt lgkmcnt(0) & vmcnt(0)                    // force waitcnt0
s_barrier //


/* Done global A/B reads */


	;; [unrolled: 1-line block ×4, first 2 shown]
/* local write a */

_ds_store_b64 v[vgprLocalWriteAddrA], v[vgprG2LA+0:vgprG2LA+0+1] offset:0 // lwoA_0_0_0_0 = (0*LSCA)*(MT0I+PAD) + (0*LSPA) = 0
_ds_store_b64 v[vgprLocalWriteAddrA], v[vgprG2LA+2:vgprG2LA+2+1] offset:64 // lwoA_0_0_1_0 = (0*LSCA)*(MT0I+PAD) + (1*LSPA) = 64
_ds_store_b64 v[vgprLocalWriteAddrA], v[vgprG2LA+4:vgprG2LA+4+1] offset:128 // lwoA_0_0_2_0 = (0*LSCA)*(MT0I+PAD) + (2*LSPA) = 128
_ds_store_b64 v[vgprLocalWriteAddrA], v[vgprG2LA+6:vgprG2LA+6+1] offset:192 // lwoA_0_0_3_0 = (0*LSCA)*(MT0I+PAD) + (3*LSPA) = 192


/* local write b */

_ds_store_b64 v[vgprLocalWriteAddrB], v[vgprG2LB+0:vgprG2LB+0+1] offset:0 // lwoB_0_0_0_0 = (0*LSCB)*(MT1J+PAD) + (0*LSPB) = 0
_ds_store_b64 v[vgprLocalWriteAddrB], v[vgprG2LB+2:vgprG2LB+2+1] offset:64 // lwoB_0_0_1_0 = (0*LSCB)*(MT1J+PAD) + (1*LSPB) = 64
_ds_store_b64 v[vgprLocalWriteAddrB], v[vgprG2LB+4:vgprG2LB+4+1] offset:128 // lwoB_0_0_2_0 = (0*LSCB)*(MT1J+PAD) + (2*LSPB) = 128
_ds_store_b64 v[vgprLocalWriteAddrB], v[vgprG2LB+6:vgprG2LB+6+1] offset:192 // lwoB_0_0_3_0 = (0*LSCB)*(MT1J+PAD) + (3*LSPB) = 192


/* Recalc local read offsets */


s_waitcnt lgkmcnt(0)                               // lgkmcnt=0 vmcnt=-15wait for local write

s_waitcnt lgkmcnt(0) & vmcnt(0)                    // force waitcnt0
s_barrier //


/* local read reset offsets a */


/* localReadResetOffsets */
/* handled internally */
v_and_b32 v[vgprLocalReadAddrA], 0x7fff, v[vgprLocalReadAddrA] // reset Red,Blk -> Red


/* local read reset offsets b */


/* localReadResetOffsets */
/* handled internally */
v_and_b32 v[vgprLocalReadAddrB], 0x7fff, v[vgprLocalReadAddrB] // reset Red,Blk -> Red


/* local read init pointers a */


/* localReadInitPointers */


/* local read init pointers b */


/* localReadInitPointers */


/* tail loop: macs */

TailLoopBeginL_6:


/* local read a */

_ds_load_b64 v[vgprValuA_X0_I0+0:vgprValuA_X0_I0+0+1], v[vgprLocalReadAddrA] offset:0 // L -> Reg lro=0 swapByteOffset=0 ti=128 vIdx=0 rIdx=0 oIdx=0 buffer=0 iui=0


/* local read b */

_ds_load_b64 v[vgprValuB_X0_I0+0:vgprValuB_X0_I0+0+1], v[vgprLocalReadAddrB] offset:0 // L -> Reg lro=0 swapByteOffset=0 ti=32 vIdx=0 rIdx=0 oIdx=0 buffer=0 iui=0
_ds_load_b64 v[vgprValuB_X0_I0+2:vgprValuB_X0_I0+2+1], v[vgprLocalReadAddrB] offset:256 // L -> Reg lro=0 swapByteOffset=0 ti=32 vIdx=1 rIdx=0 oIdx=0 buffer=0 iui=0
	;; [unrolled: 1-line block ×4, first 2 shown]


/* local read inc a */

s_mov_b32 s58, 0x820                               // inc
_v_add_co_u32 v[vgprLocalReadAddrA], vcc, s58, v[vgprLocalReadAddrA] // lrA += 2080 (LSU*(MT+PAD)*bpe)


/* local read inc b */

s_mov_b32 s58, 0x820                               // inc
_v_add_co_u32 v[vgprLocalReadAddrB], vcc, s58, v[vgprLocalReadAddrB] // lrB += 2080 (LSU*(MT+PAD)*bpe)

s_waitcnt lgkmcnt(0)                               // lgkmcnt=0 vmcnt=-14wait for local read


	;; [unrolled: 1-line block ×3, first 2 shown]
/* tail loop mfma iter 0: numReadsIterCoalescedA=1, numReadsIterCoalescedB=1 */
v_and_b32 v43, 63, v[vgprSerial]                   // v43 = v[vgprSerial] % 64
v_lshrrev_b32 v43, 5, v43                          // v43 = v43 / 32
                                                   // v43 = v43 * 1 (multiplier is 1, do nothing)
v_cmp_ge_i32 s[66:67], v43, s[sgprLoopCounterL]    // check K index >= Size L
v_cndmask_b32 v[vgprValuA_X0_I0+0+0+0+0], v[vgprValuA_X0_I0+0+0+0+0], 0x0, s[66:67] // set 0 if K_idx >= sizeL
v_cndmask_b32 v[vgprValuB_X0_I0+0+0+0+0], v[vgprValuB_X0_I0+0+0+0+0], 0x0, s[66:67] // set 0 if K_idx >= sizeL
v_cndmask_b32 v[vgprValuB_X0_I0+2+0+0+0], v[vgprValuB_X0_I0+2+0+0+0], 0x0, s[66:67] // set 0 if K_idx >= sizeL
	;; [unrolled: 1-line block ×4, first 2 shown]
v_cndmask_b32 v[vgprValuA_X0_I0+0+0+0+1], v[vgprValuA_X0_I0+0+0+0+1], 0x0, s[66:67] // set 0 if K_idx >= sizeL
v_cndmask_b32 v[vgprValuB_X0_I0+0+0+0+1], v[vgprValuB_X0_I0+0+0+0+1], 0x0, s[66:67] // set 0 if K_idx >= sizeL
v_cndmask_b32 v[vgprValuB_X0_I0+2+0+0+1], v[vgprValuB_X0_I0+2+0+0+1], 0x0, s[66:67] // set 0 if K_idx >= sizeL
v_cndmask_b32 v[vgprValuB_X0_I0+4+0+0+1], v[vgprValuB_X0_I0+4+0+0+1], 0x0, s[66:67] // set 0 if K_idx >= sizeL
v_cndmask_b32 v[vgprValuB_X0_I0+6+0+0+1], v[vgprValuB_X0_I0+6+0+0+1], 0x0, s[66:67] // set 0 if K_idx >= sizeL
s_nop 1
v_add_f32 v43, -v[vgprValuA_X0_I0+0+0+0+1], 0      // Ai=-Ai
v_mfma_f32_32x32x2f32 a[0+0:15+0], v[vgprValuA_X0_I0+0+0+0], v[vgprValuB_X0_I0+0+0+0], a[0:15]
 // Cr += Ar*Br
v_mfma_f32_32x32x2f32 a[64+0:79+0], v[vgprValuA_X0_I0+0+0+0+1], v[vgprValuB_X0_I0+0+0+0], a[64:79]
 // Ci += Ai*Br
v_mfma_f32_32x32x2f32 a[0+0:15+0], v43, v[vgprValuB_X0_I0+0+0+0+1], a[0:15]
 // Cr += -Ai*Bi
v_mfma_f32_32x32x2f32 a[64+0:79+0], v[vgprValuA_X0_I0+0+0+0], v[vgprValuB_X0_I0+0+0+0+1], a[64:79]
 // Ci += Ar*Bi
v_mfma_f32_32x32x2f32 a[16+0:31+0], v[vgprValuA_X0_I0+0+0+0], v[vgprValuB_X0_I0+2+0+0], a[16:31]
 // Cr += Ar*Br
v_mfma_f32_32x32x2f32 a[80+0:95+0], v[vgprValuA_X0_I0+0+0+0+1], v[vgprValuB_X0_I0+2+0+0], a[80:95]
 // Ci += Ai*Br
v_mfma_f32_32x32x2f32 a[16+0:31+0], v43, v[vgprValuB_X0_I0+2+0+0+1], a[16:31]
 // Cr += -Ai*Bi
v_mfma_f32_32x32x2f32 a[80+0:95+0], v[vgprValuA_X0_I0+0+0+0], v[vgprValuB_X0_I0+2+0+0+1], a[80:95]
 // Ci += Ar*Bi
	;; [unrolled: 8-line block ×4, first 2 shown]


/* closeLoop loopL finalLoop=1 tailLoop=1 */
s_sub_i32 s[sgprLoopCounterL], s[sgprLoopCounterL], 0x2 // dec counterL (tailLoop)
s_add_u32 s[sgprOrigLoopCounter], s[sgprOrigLoopCounter], 0x2 // inc counterL
s_cmp_le_i32 s[sgprLoopCounterL], 0x0              // counterL<=0
s_cbranch_scc0 TailLoopBeginL_6                    // restart LoopL
TailLoopEndL_7:

SkipTailLoopL_8:

Summation_End_28:
/* endSummation: add vgpr [0...40) to pool */
.set NumFullBlocks, UNDEF
.set WgmRemainder1, UNDEF
.set MagicNumberWgmRemainder1, UNDEF
.set ScalarGlobalReadOffsetA, UNDEF
.set ScalarGlobalReadOffsetB, UNDEF

/* Mapping of Acc register -> C Vgpr register */


	;; [unrolled: 1-line block ×3, first 2 shown]
/* not-LocalSplitU: global write indices */

/* computeStoreVgprs */
v_lshrrev_b32 v4, 6, v[vgprSerial]                 // v4 = v[vgprSerial] / 64
v_lshrrev_b32 v1, 2, v4                            // v1 = v4 / 4
v_mul_lo_u32 v1, 0x20, v1                          // wave coordination offset 1
v_and_b32 v5, 31, v[vgprSerial]                    // v5 = v[vgprSerial] % 32
_v_add_lshl_u32 v1, v5, v1, 0                      // coordination 1 = vwb *(wave_id1 + tid1)
v_mul_lo_u32 v2, v1, s[sgprStrideC1J]              //  offset 1
v_mul_lo_u32 v3, v1, s[sgprStrideD1J]              //  offset 1
v_and_b32 v0, 63, v[vgprSerial]                    // v0 = v[vgprSerial] % 64
v_lshrrev_b32 v0, 5, v0                            // v0 = v0 / 32
v_lshlrev_b32 v0, 0x2, v0                          // thread0 * continuous_output
v_and_b32 v5, 3, v4                                // v5 = v4 % 4
v_mul_lo_u32 v5, 0x20, v5                          // wave coordination offset 0
_v_add_lshl_u32 v0, v5, v0, 0                      // coordination 0 = vwa *(wave_id0 + tid0)
s_mul_i32 s55, 128, s[sgprWorkGroup0]              // wgp0 * MT0
_v_add_u32 v0, s55, v0                             // coord 0 = (tid0/MI_m)*4 + waveG0*MIB_m + MT0*SG0
s_mul_i32 s55, 128, s[sgprWorkGroup1]              // wgp1 * MT1
_v_add_u32 v1, s55, v1                             // coord 1 = (tid0%MI_m) + waveG1*MIB_n + MT1*SG1
/* Store Remap Local Write address */
v_lshrrev_b32 v5, 8, v[vgprSerial]                 // v5 = v[vgprSerial] / 256
v_and_b32 v4, 255, v[vgprSerial]                   // v4 = v[vgprSerial] % 256
v_mul_lo_u32 v13, 0x20, v5                         // coord1 offset of LDS for each Wave
v_and_b32 v5, 0x1f, v[vgprSerial]                  // coord1 offset of LDS for each thread
_v_add_u32 v5, v13, v5                             // coord1 offset in MacroTile
v_mov_b32 v11, 0x84                                // lds stride = MT0 + PAD
v_mul_lo_u32 v9, v5, v11                           // lds coord1 offset = Col-id* lds stride
v_lshrrev_b32 v10, 6, v4                           // v10 = v4 / 64
v_and_b32 v4, 63, v4                               // v4 = v4 % 64
v_lshrrev_b32 v12, 0x5, v4                         // tid / matrixInstN
v_lshlrev_b32 v12, 0x2, v12                        // lds coord0 offset *= 4 (each thread hold 4 element)
v_mad_u32_u24 v12, 32, v10, v12                    // coord0 += waveCoord0 * wave M shape(blockM*MiM)
_v_add_lshl_u32 v7, v9, v12, 0x3                   // local write C address

/* Store Remap Local Read address */
v_lshrrev_b32 v5, 6, v[vgprSerial]                 // v5 = v[vgprSerial] / 64
v_and_b32 v4, 63, v[vgprSerial]                    // v4 = v[vgprSerial] % 64
v_mul_lo_u32 v13, 0x8, v5                          // coord1 offset of LDS for each Wave
v_lshrrev_b32 v10, 0x6, v4                         // tid / nThreadPerCol
_v_add_u32 v6, v13, v10                            // coord1 offset in MacroTile
v_mul_lo_u32 v9, v6, v11                           // lds coord1 offset = Col-id* lds stride
v_and_b32 v12, 0x3f, v4                            // coord0 offset of LDS for each thread
v_lshlrev_b32 v12, 0x1, v12                        // lds coord0 offset *= gwvw (each thread hold gwvw element)
_v_add_lshl_u32 v8, v9, v12, 0x3                   // local read C address

/* Store Remap global write coord0 and coord1 */
v_lshrrev_b32 v5, 8, v[vgprSerial]                 // v5 = v[vgprSerial] / 256
v_and_b32 v4, 255, v[vgprSerial]                   // v4 = v[vgprSerial] % 256
v_mul_lo_u32 v13, 0x20, v5                         // coord1 offset of global memory for each Wave
v_lshrrev_b32 v5, 6, v4                            // v5 = v4 / 64
v_and_b32 v4, 63, v4                               // v4 = v4 % 64
v_mad_u32_u24 v13, 8, v5, v13                      // waveCoord1 += waveCoord0 * MiN / WaveGroupM
v_lshrrev_b32 v10, 0x6, v4                         // tid / nThreadPerCol
_v_add_u32 v6, v13, v10                            // coord1 offset in MacroTile
s_mul_i32 s56, 0x80, s[sgprWorkGroup0]             // s56 = wg0*MT0
_v_add_co_u32 v4, vcc, s56, v12                    // coord0 = coord0 + wg0 * MT0
s_mul_i32 s57, MT1, s[sgprWorkGroup1]              // <- wg1*MT1
_v_add_co_u32 v5, vcc, s57, v6                     // coord1 = tid1*VW + wg1*MT1

s_waitcnt lgkmcnt(0) & vmcnt(0)                    // force waitcnt0
s_barrier //StoreRemap Start


/* not-LocalSplitU: global write */

s_mov_b32 s55, s[sgprBeta+0]                       // tmp = Beta[0]
s_or_b32 s55, s[sgprBeta+1], s55                   // tmp |= Beta[1] 
s_cmpk_eq_u32 s55, 0x0                             // Beta == 0
s_cbranch_scc0 GW_Beta_43                          // Branch if Beta is not zero

s_and_b32 s56, 127, s[sgprSizeI]                   // s56 = s[sgprSizeI] % 128
s_add_u32 s57, -0x1, s[sgprNumWorkGroups0]         // 
s_cmp_ge_u32 s[sgprWorkGroup0], s57                // wg0 >= nwg0-1 ?
s_cselect_b32 s56, s56, 0                          // set rMT0
s_cmpk_gt_u32 s56, 0x0                             // rMT0 > 0
s_cbranch_scc1 GW_B0_E1_34                         // jump if edges required
s_and_b32 s56, 127, s[sgprSizeJ]                   // s56 = s[sgprSizeJ] % 128
s_add_u32 s57, -0x1, s[sgprNumWorkGroups1]         // 
s_cmp_ge_u32 s[sgprWorkGroup1], s57                // wg1 >= nwg1-1
s_cselect_b32 s56, s56, 0                          // set rMT1
s_cmpk_gt_u32 s56, 0x0                             // rMT1 > 0
s_cbranch_scc1 GW_B0_E1_34                         // jump if edges required
GW_B0_E0_31:

/* edge=0, allocate 2 sgpr. perBatchTmpS=2 perBatchMaskS=0 perElementMaskS=0 elementsPerBatch=8 */
/* optSingleColVgpr=1 optSharedColVgpr=0 optSGPRUsage=BufferLoad_Mask optSrdIncForRow=1 */

/******************************************/
/* Global Write Alpha Batch #0 (d1,d0,vc1,vc0) = */
/*    (0,0,0,0:vw2); (0,0,0,2:vw2); (0,1,0,0:vw2); (0,1,0,2:vw2); (0,2,0,0:vw2); (0,2,0,2:vw2); (0,3,0,0:vw2); (0,3,0,2:vw2) */
/******************************************/

/* calc coords, apply mask, and issue loads (if necessary) */
/* (d1,vc1,d0,vc0)=(0,0,0,0) */
/* (d1,vc1,d0,vc0)=(0,0,0,2) */
	;; [unrolled: 1-line block ×8, first 2 shown]
_v_add_lshl_u32 v9, v3, v0, 0x3                    // optSingleColVgpr scaleToBpe: sharedAddrVgpr <- cinRowPtr + coord0, scaled by BPE. BSHERE:coord0=0, coord0Vgpr=0
v_accvgpr_read_b32 v[vgprValuC+16], acc0 // copy acc to vreg[0]
v_accvgpr_read_b32 v[vgprValuC+17], acc64 // copy acc to vreg[1]
v_accvgpr_read_b32 v[vgprValuC+18], acc1 // copy acc to vreg[2]
v_accvgpr_read_b32 v[vgprValuC+19], acc65 // copy acc to vreg[3]
v_accvgpr_read_b32 v[vgprValuC+20], acc2 // copy acc to vreg[4]
v_accvgpr_read_b32 v[vgprValuC+21], acc66 // copy acc to vreg[5]
v_accvgpr_read_b32 v[vgprValuC+22], acc3 // copy acc to vreg[6]
v_accvgpr_read_b32 v[vgprValuC+23], acc67 // copy acc to vreg[7]
v_accvgpr_read_b32 v[vgprValuC+24], acc4 // copy acc to vreg[8]
v_accvgpr_read_b32 v[vgprValuC+25], acc68 // copy acc to vreg[9]
v_accvgpr_read_b32 v[vgprValuC+26], acc5 // copy acc to vreg[10]
v_accvgpr_read_b32 v[vgprValuC+27], acc69 // copy acc to vreg[11]
v_accvgpr_read_b32 v[vgprValuC+28], acc6 // copy acc to vreg[12]
v_accvgpr_read_b32 v[vgprValuC+29], acc70 // copy acc to vreg[13]
v_accvgpr_read_b32 v[vgprValuC+30], acc7 // copy acc to vreg[14]
v_accvgpr_read_b32 v[vgprValuC+31], acc71 // copy acc to vreg[15]
v_accvgpr_read_b32 v[vgprValuC+32], acc8 // copy acc to vreg[16]
v_accvgpr_read_b32 v[vgprValuC+33], acc72 // copy acc to vreg[17]
v_accvgpr_read_b32 v[vgprValuC+34], acc9 // copy acc to vreg[18]
v_accvgpr_read_b32 v[vgprValuC+35], acc73 // copy acc to vreg[19]
v_accvgpr_read_b32 v[vgprValuC+36], acc10 // copy acc to vreg[20]
v_accvgpr_read_b32 v[vgprValuC+37], acc74 // copy acc to vreg[21]
v_accvgpr_read_b32 v[vgprValuC+38], acc11 // copy acc to vreg[22]
v_accvgpr_read_b32 v[vgprValuC+39], acc75 // copy acc to vreg[23]
v_accvgpr_read_b32 v[vgprValuC+44], acc12 // copy acc to vreg[24]
v_accvgpr_read_b32 v[vgprValuC+45], acc76 // copy acc to vreg[25]
v_accvgpr_read_b32 v[vgprValuC+46], acc13 // copy acc to vreg[26]
v_accvgpr_read_b32 v[vgprValuC+47], acc77 // copy acc to vreg[27]
v_accvgpr_read_b32 v[vgprValuC+48], acc14 // copy acc to vreg[28]
v_accvgpr_read_b32 v[vgprValuC+49], acc78 // copy acc to vreg[29]
v_accvgpr_read_b32 v[vgprValuC+50], acc15 // copy acc to vreg[30]
v_accvgpr_read_b32 v[vgprValuC+51], acc79 // copy acc to vreg[31]
s_nop 1                                            // 2 wait states required before reading vgpr

/* rC *= alpha batchElements=[(0, 0, 0, 0), (0, 0, 0, 2), (0, 1, 0, 0), (0, 1, 0, 2), (0, 2, 0, 0), (0, 2, 0, 2), (0, 3, 0, 0), (0, 3, 0, 2)] */
v_mov_b32 v13, v[vgprValuC+16]                     // store Cr
v_mul_f32 v[vgprValuC+16], s[sgprAlpha], v[vgprValuC+16] // *= alpha ( Cr = Ar * Cr)
_v_mac_f32 v[vgprValuC+16], -s[sgprAlpha+1], v[vgprValuC+17] // *= alpha ( Cr += -Ai * Ci )
v_mul_f32 v[vgprValuC+17], s[sgprAlpha], v[vgprValuC+17] // *= alpha ( Ci = Ar * Ci)
_v_mac_f32 v[vgprValuC+17], s[sgprAlpha+1], v13    // *= alpha ( Ci += Ai * Cr_backup )
v_mov_b32 v13, v[vgprValuC+18]                     // store Cr
v_mul_f32 v[vgprValuC+18], s[sgprAlpha], v[vgprValuC+18] // *= alpha ( Cr = Ar * Cr)
_v_mac_f32 v[vgprValuC+18], -s[sgprAlpha+1], v[vgprValuC+19] // *= alpha ( Cr += -Ai * Ci )
v_mul_f32 v[vgprValuC+19], s[sgprAlpha], v[vgprValuC+19] // *= alpha ( Ci = Ar * Ci)
_v_mac_f32 v[vgprValuC+19], s[sgprAlpha+1], v13    // *= alpha ( Ci += Ai * Cr_backup )
	;; [unrolled: 5-line block ×16, first 2 shown]

/* apply mask, calc new C and issue writes */
_ds_store_b128 v7, v[16:19], offset:0              // storeRemap lw
_ds_store_b128 v7, v[20:23], offset:16             // storeRemap lw
_ds_store_b128 v7, v[24:27], offset:64             // storeRemap lw
	;; [unrolled: 1-line block ×3, first 2 shown]
_ds_store_b128 v7, v[32:35], offset:128            // storeRemap lw
_ds_store_b128 v7, v[36:39], offset:144            // storeRemap lw
_ds_store_b128 v7, v[44:47], offset:192            // storeRemap lw
_ds_store_b128 v7, v[48:51], offset:208            // storeRemap lw

/* Handle local read and global write */
s_waitcnt lgkmcnt(0)                               // wait for LDS write
s_barrier //wait all lds write finished

_ds_load_b128 v[16:19], v8, offset:0               // storeRemap lr
_ds_load_b128 v[20:23], v8, offset:1056            // storeRemap lr
_ds_load_b128 v[24:27], v8, offset:2112            // storeRemap lr
	;; [unrolled: 1-line block ×7, first 2 shown]

v_mov_b32 v13, v6                                  // coord1
v_mul_lo_u32 v13, v13, s[sgprStrideD1J]            // coord1 offset =  coord1 * StrideD
_v_add_lshl_u32 v13, v13, v4, 0x3                  // global write D address
s_waitcnt lgkmcnt(7)                               // wait for LDS read
_buffer_store_b128 v[16:19], v13, s[sgprSrdD:sgprSrdD+3], 0, offen, offset:0 // store D
_v_add_u32 v13, v6, 1                              // coord1 += nColPerLoad
v_mul_lo_u32 v13, v13, s[sgprStrideD1J]            // coord1 offset =  coord1 * StrideD
_v_add_lshl_u32 v13, v13, v4, 0x3                  // global write D address
s_waitcnt lgkmcnt(6)                               // wait for LDS read
_buffer_store_b128 v[20:23], v13, s[sgprSrdD:sgprSrdD+3], 0, offen, offset:0 // store D
_v_add_u32 v13, v6, 2                              // coord1 += nColPerLoad
	;; [unrolled: 5-line block ×7, first 2 shown]
v_mul_lo_u32 v13, v13, s[sgprStrideD1J]            // coord1 offset =  coord1 * StrideD
_v_add_lshl_u32 v13, v13, v4, 0x3                  // global write D address
s_waitcnt lgkmcnt(0)                               // wait for LDS read
_buffer_store_b128 v[48:51], v13, s[sgprSrdD:sgprSrdD+3], 0, offen, offset:0 // store D

s_barrier //wait all lds read finished
s_nop 0                                            // 1 wait state required when next inst writes vgprs held by previous dwordx4 store inst
/* optSingleColVgpr=1 optSharedColVgpr=0 optSGPRUsage=BufferLoad_Mask optSrdIncForRow=1 */

/******************************************/
/* Global Write Alpha Batch #1 (d1,d0,vc1,vc0) = */
/*    (1,0,0,0:vw2); (1,0,0,2:vw2); (1,1,0,0:vw2); (1,1,0,2:vw2); (1,2,0,0:vw2); (1,2,0,2:vw2); (1,3,0,0:vw2); (1,3,0,2:vw2) */
/******************************************/

/* calc coords, apply mask, and issue loads (if necessary) */
/* (d1,vc1,d0,vc0)=(1,0,0,0) */
/* (d1,vc1,d0,vc0)=(1,0,0,2) */
	;; [unrolled: 1-line block ×8, first 2 shown]
v_accvgpr_read_b32 v[vgprValuC+16], acc16 // copy acc to vreg[32]
v_accvgpr_read_b32 v[vgprValuC+17], acc80 // copy acc to vreg[33]
v_accvgpr_read_b32 v[vgprValuC+18], acc17 // copy acc to vreg[34]
v_accvgpr_read_b32 v[vgprValuC+19], acc81 // copy acc to vreg[35]
v_accvgpr_read_b32 v[vgprValuC+20], acc18 // copy acc to vreg[36]
v_accvgpr_read_b32 v[vgprValuC+21], acc82 // copy acc to vreg[37]
v_accvgpr_read_b32 v[vgprValuC+22], acc19 // copy acc to vreg[38]
v_accvgpr_read_b32 v[vgprValuC+23], acc83 // copy acc to vreg[39]
v_accvgpr_read_b32 v[vgprValuC+24], acc20 // copy acc to vreg[40]
v_accvgpr_read_b32 v[vgprValuC+25], acc84 // copy acc to vreg[41]
v_accvgpr_read_b32 v[vgprValuC+26], acc21 // copy acc to vreg[42]
v_accvgpr_read_b32 v[vgprValuC+27], acc85 // copy acc to vreg[43]
v_accvgpr_read_b32 v[vgprValuC+28], acc22 // copy acc to vreg[44]
v_accvgpr_read_b32 v[vgprValuC+29], acc86 // copy acc to vreg[45]
v_accvgpr_read_b32 v[vgprValuC+30], acc23 // copy acc to vreg[46]
v_accvgpr_read_b32 v[vgprValuC+31], acc87 // copy acc to vreg[47]
v_accvgpr_read_b32 v[vgprValuC+32], acc24 // copy acc to vreg[48]
v_accvgpr_read_b32 v[vgprValuC+33], acc88 // copy acc to vreg[49]
v_accvgpr_read_b32 v[vgprValuC+34], acc25 // copy acc to vreg[50]
v_accvgpr_read_b32 v[vgprValuC+35], acc89 // copy acc to vreg[51]
v_accvgpr_read_b32 v[vgprValuC+36], acc26 // copy acc to vreg[52]
v_accvgpr_read_b32 v[vgprValuC+37], acc90 // copy acc to vreg[53]
v_accvgpr_read_b32 v[vgprValuC+38], acc27 // copy acc to vreg[54]
v_accvgpr_read_b32 v[vgprValuC+39], acc91 // copy acc to vreg[55]
v_accvgpr_read_b32 v[vgprValuC+44], acc28 // copy acc to vreg[56]
v_accvgpr_read_b32 v[vgprValuC+45], acc92 // copy acc to vreg[57]
v_accvgpr_read_b32 v[vgprValuC+46], acc29 // copy acc to vreg[58]
v_accvgpr_read_b32 v[vgprValuC+47], acc93 // copy acc to vreg[59]
v_accvgpr_read_b32 v[vgprValuC+48], acc30 // copy acc to vreg[60]
v_accvgpr_read_b32 v[vgprValuC+49], acc94 // copy acc to vreg[61]
v_accvgpr_read_b32 v[vgprValuC+50], acc31 // copy acc to vreg[62]
v_accvgpr_read_b32 v[vgprValuC+51], acc95 // copy acc to vreg[63]
s_nop 1                                            // 2 wait states required before reading vgpr

/* rC *= alpha batchElements=[(1, 0, 0, 0), (1, 0, 0, 2), (1, 1, 0, 0), (1, 1, 0, 2), (1, 2, 0, 0), (1, 2, 0, 2), (1, 3, 0, 0), (1, 3, 0, 2)] */
v_mov_b32 v13, v[vgprValuC+16]                     // store Cr
v_mul_f32 v[vgprValuC+16], s[sgprAlpha], v[vgprValuC+16] // *= alpha ( Cr = Ar * Cr)
_v_mac_f32 v[vgprValuC+16], -s[sgprAlpha+1], v[vgprValuC+17] // *= alpha ( Cr += -Ai * Ci )
v_mul_f32 v[vgprValuC+17], s[sgprAlpha], v[vgprValuC+17] // *= alpha ( Ci = Ar * Ci)
_v_mac_f32 v[vgprValuC+17], s[sgprAlpha+1], v13    // *= alpha ( Ci += Ai * Cr_backup )
v_mov_b32 v13, v[vgprValuC+18]                     // store Cr
v_mul_f32 v[vgprValuC+18], s[sgprAlpha], v[vgprValuC+18] // *= alpha ( Cr = Ar * Cr)
_v_mac_f32 v[vgprValuC+18], -s[sgprAlpha+1], v[vgprValuC+19] // *= alpha ( Cr += -Ai * Ci )
v_mul_f32 v[vgprValuC+19], s[sgprAlpha], v[vgprValuC+19] // *= alpha ( Ci = Ar * Ci)
_v_mac_f32 v[vgprValuC+19], s[sgprAlpha+1], v13    // *= alpha ( Ci += Ai * Cr_backup )
	;; [unrolled: 5-line block ×16, first 2 shown]

/* apply mask, calc new C and issue writes */

/* StoreRemap: shift coord1 address */
s_mul_i32 s56, s[sgprStrideD1J], 256               // scale StrideD *= numRows(32) * bpe
s_add_u32  s[sgprSrdD+0], s[sgprSrdD+0], s56       // incToNextRow: gra SRD += inc(lower)
s_addc_u32  s[sgprSrdD+1], s[sgprSrdD+1], 0        // incToNextRow: gra SRD += inc(upper)
v_mov_b32 v10, 32                                  // set shift rows
_v_add_u32 v5, v5, v10                             // shift storeRemap coord1
_ds_store_b128 v7, v[16:19], offset:0              // storeRemap lw
_ds_store_b128 v7, v[20:23], offset:16             // storeRemap lw
_ds_store_b128 v7, v[24:27], offset:64             // storeRemap lw
	;; [unrolled: 1-line block ×3, first 2 shown]
_ds_store_b128 v7, v[32:35], offset:128            // storeRemap lw
_ds_store_b128 v7, v[36:39], offset:144            // storeRemap lw
	;; [unrolled: 1-line block ×4, first 2 shown]

/* Handle local read and global write */
s_waitcnt lgkmcnt(0)                               // wait for LDS write
s_barrier //wait all lds write finished

_ds_load_b128 v[16:19], v8, offset:0               // storeRemap lr
_ds_load_b128 v[20:23], v8, offset:1056            // storeRemap lr
_ds_load_b128 v[24:27], v8, offset:2112            // storeRemap lr
	;; [unrolled: 1-line block ×7, first 2 shown]

v_mov_b32 v13, v6                                  // coord1
v_mul_lo_u32 v13, v13, s[sgprStrideD1J]            // coord1 offset =  coord1 * StrideD
_v_add_lshl_u32 v13, v13, v4, 0x3                  // global write D address
s_waitcnt lgkmcnt(7)                               // wait for LDS read
_buffer_store_b128 v[16:19], v13, s[sgprSrdD:sgprSrdD+3], 0, offen, offset:0 // store D
_v_add_u32 v13, v6, 1                              // coord1 += nColPerLoad
v_mul_lo_u32 v13, v13, s[sgprStrideD1J]            // coord1 offset =  coord1 * StrideD
_v_add_lshl_u32 v13, v13, v4, 0x3                  // global write D address
s_waitcnt lgkmcnt(6)                               // wait for LDS read
_buffer_store_b128 v[20:23], v13, s[sgprSrdD:sgprSrdD+3], 0, offen, offset:0 // store D
_v_add_u32 v13, v6, 2                              // coord1 += nColPerLoad
	;; [unrolled: 5-line block ×7, first 2 shown]
v_mul_lo_u32 v13, v13, s[sgprStrideD1J]            // coord1 offset =  coord1 * StrideD
_v_add_lshl_u32 v13, v13, v4, 0x3                  // global write D address
s_waitcnt lgkmcnt(0)                               // wait for LDS read
_buffer_store_b128 v[48:51], v13, s[sgprSrdD:sgprSrdD+3], 0, offen, offset:0 // store D

s_barrier //wait all lds read finished
s_nop 0                                            // 1 wait state required when next inst writes vgprs held by previous dwordx4 store inst
/* optSingleColVgpr=1 optSharedColVgpr=0 optSGPRUsage=BufferLoad_Mask optSrdIncForRow=1 */

/******************************************/
/* Global Write Alpha Batch #2 (d1,d0,vc1,vc0) = */
/*    (2,0,0,0:vw2); (2,0,0,2:vw2); (2,1,0,0:vw2); (2,1,0,2:vw2); (2,2,0,0:vw2); (2,2,0,2:vw2); (2,3,0,0:vw2); (2,3,0,2:vw2) */
/******************************************/

/* calc coords, apply mask, and issue loads (if necessary) */
/* (d1,vc1,d0,vc0)=(2,0,0,0) */
/* (d1,vc1,d0,vc0)=(2,0,0,2) */
	;; [unrolled: 1-line block ×8, first 2 shown]
v_accvgpr_read_b32 v[vgprValuC+16], acc32 // copy acc to vreg[64]
v_accvgpr_read_b32 v[vgprValuC+17], acc96 // copy acc to vreg[65]
v_accvgpr_read_b32 v[vgprValuC+18], acc33 // copy acc to vreg[66]
v_accvgpr_read_b32 v[vgprValuC+19], acc97 // copy acc to vreg[67]
v_accvgpr_read_b32 v[vgprValuC+20], acc34 // copy acc to vreg[68]
v_accvgpr_read_b32 v[vgprValuC+21], acc98 // copy acc to vreg[69]
v_accvgpr_read_b32 v[vgprValuC+22], acc35 // copy acc to vreg[70]
v_accvgpr_read_b32 v[vgprValuC+23], acc99 // copy acc to vreg[71]
v_accvgpr_read_b32 v[vgprValuC+24], acc36 // copy acc to vreg[72]
v_accvgpr_read_b32 v[vgprValuC+25], acc100 // copy acc to vreg[73]
v_accvgpr_read_b32 v[vgprValuC+26], acc37 // copy acc to vreg[74]
v_accvgpr_read_b32 v[vgprValuC+27], acc101 // copy acc to vreg[75]
v_accvgpr_read_b32 v[vgprValuC+28], acc38 // copy acc to vreg[76]
v_accvgpr_read_b32 v[vgprValuC+29], acc102 // copy acc to vreg[77]
v_accvgpr_read_b32 v[vgprValuC+30], acc39 // copy acc to vreg[78]
v_accvgpr_read_b32 v[vgprValuC+31], acc103 // copy acc to vreg[79]
v_accvgpr_read_b32 v[vgprValuC+32], acc40 // copy acc to vreg[80]
v_accvgpr_read_b32 v[vgprValuC+33], acc104 // copy acc to vreg[81]
v_accvgpr_read_b32 v[vgprValuC+34], acc41 // copy acc to vreg[82]
v_accvgpr_read_b32 v[vgprValuC+35], acc105 // copy acc to vreg[83]
v_accvgpr_read_b32 v[vgprValuC+36], acc42 // copy acc to vreg[84]
v_accvgpr_read_b32 v[vgprValuC+37], acc106 // copy acc to vreg[85]
v_accvgpr_read_b32 v[vgprValuC+38], acc43 // copy acc to vreg[86]
v_accvgpr_read_b32 v[vgprValuC+39], acc107 // copy acc to vreg[87]
v_accvgpr_read_b32 v[vgprValuC+44], acc44 // copy acc to vreg[88]
v_accvgpr_read_b32 v[vgprValuC+45], acc108 // copy acc to vreg[89]
v_accvgpr_read_b32 v[vgprValuC+46], acc45 // copy acc to vreg[90]
v_accvgpr_read_b32 v[vgprValuC+47], acc109 // copy acc to vreg[91]
v_accvgpr_read_b32 v[vgprValuC+48], acc46 // copy acc to vreg[92]
v_accvgpr_read_b32 v[vgprValuC+49], acc110 // copy acc to vreg[93]
v_accvgpr_read_b32 v[vgprValuC+50], acc47 // copy acc to vreg[94]
v_accvgpr_read_b32 v[vgprValuC+51], acc111 // copy acc to vreg[95]
s_nop 1                                            // 2 wait states required before reading vgpr

/* rC *= alpha batchElements=[(2, 0, 0, 0), (2, 0, 0, 2), (2, 1, 0, 0), (2, 1, 0, 2), (2, 2, 0, 0), (2, 2, 0, 2), (2, 3, 0, 0), (2, 3, 0, 2)] */
v_mov_b32 v13, v[vgprValuC+16]                     // store Cr
v_mul_f32 v[vgprValuC+16], s[sgprAlpha], v[vgprValuC+16] // *= alpha ( Cr = Ar * Cr)
_v_mac_f32 v[vgprValuC+16], -s[sgprAlpha+1], v[vgprValuC+17] // *= alpha ( Cr += -Ai * Ci )
v_mul_f32 v[vgprValuC+17], s[sgprAlpha], v[vgprValuC+17] // *= alpha ( Ci = Ar * Ci)
_v_mac_f32 v[vgprValuC+17], s[sgprAlpha+1], v13    // *= alpha ( Ci += Ai * Cr_backup )
v_mov_b32 v13, v[vgprValuC+18]                     // store Cr
v_mul_f32 v[vgprValuC+18], s[sgprAlpha], v[vgprValuC+18] // *= alpha ( Cr = Ar * Cr)
_v_mac_f32 v[vgprValuC+18], -s[sgprAlpha+1], v[vgprValuC+19] // *= alpha ( Cr += -Ai * Ci )
v_mul_f32 v[vgprValuC+19], s[sgprAlpha], v[vgprValuC+19] // *= alpha ( Ci = Ar * Ci)
_v_mac_f32 v[vgprValuC+19], s[sgprAlpha+1], v13    // *= alpha ( Ci += Ai * Cr_backup )
	;; [unrolled: 5-line block ×16, first 2 shown]

/* apply mask, calc new C and issue writes */

/* StoreRemap: shift coord1 address */
s_mul_i32 s56, s[sgprStrideD1J], 256               // scale StrideD *= numRows(32) * bpe
s_add_u32  s[sgprSrdD+0], s[sgprSrdD+0], s56       // incToNextRow: gra SRD += inc(lower)
s_addc_u32  s[sgprSrdD+1], s[sgprSrdD+1], 0        // incToNextRow: gra SRD += inc(upper)
v_mov_b32 v10, 32                                  // set shift rows
_v_add_u32 v5, v5, v10                             // shift storeRemap coord1
_ds_store_b128 v7, v[16:19], offset:0              // storeRemap lw
_ds_store_b128 v7, v[20:23], offset:16             // storeRemap lw
_ds_store_b128 v7, v[24:27], offset:64             // storeRemap lw
	;; [unrolled: 1-line block ×3, first 2 shown]
_ds_store_b128 v7, v[32:35], offset:128            // storeRemap lw
_ds_store_b128 v7, v[36:39], offset:144            // storeRemap lw
	;; [unrolled: 1-line block ×4, first 2 shown]

/* Handle local read and global write */
s_waitcnt lgkmcnt(0)                               // wait for LDS write
s_barrier //wait all lds write finished

_ds_load_b128 v[16:19], v8, offset:0               // storeRemap lr
_ds_load_b128 v[20:23], v8, offset:1056            // storeRemap lr
_ds_load_b128 v[24:27], v8, offset:2112            // storeRemap lr
	;; [unrolled: 1-line block ×7, first 2 shown]

v_mov_b32 v13, v6                                  // coord1
v_mul_lo_u32 v13, v13, s[sgprStrideD1J]            // coord1 offset =  coord1 * StrideD
_v_add_lshl_u32 v13, v13, v4, 0x3                  // global write D address
s_waitcnt lgkmcnt(7)                               // wait for LDS read
_buffer_store_b128 v[16:19], v13, s[sgprSrdD:sgprSrdD+3], 0, offen, offset:0 // store D
_v_add_u32 v13, v6, 1                              // coord1 += nColPerLoad
v_mul_lo_u32 v13, v13, s[sgprStrideD1J]            // coord1 offset =  coord1 * StrideD
_v_add_lshl_u32 v13, v13, v4, 0x3                  // global write D address
s_waitcnt lgkmcnt(6)                               // wait for LDS read
_buffer_store_b128 v[20:23], v13, s[sgprSrdD:sgprSrdD+3], 0, offen, offset:0 // store D
_v_add_u32 v13, v6, 2                              // coord1 += nColPerLoad
	;; [unrolled: 5-line block ×7, first 2 shown]
v_mul_lo_u32 v13, v13, s[sgprStrideD1J]            // coord1 offset =  coord1 * StrideD
_v_add_lshl_u32 v13, v13, v4, 0x3                  // global write D address
s_waitcnt lgkmcnt(0)                               // wait for LDS read
_buffer_store_b128 v[48:51], v13, s[sgprSrdD:sgprSrdD+3], 0, offen, offset:0 // store D

s_barrier //wait all lds read finished
s_nop 0                                            // 1 wait state required when next inst writes vgprs held by previous dwordx4 store inst
/* optSingleColVgpr=1 optSharedColVgpr=0 optSGPRUsage=BufferLoad_Mask optSrdIncForRow=1 */

/******************************************/
/* Global Write Alpha Batch #3 (d1,d0,vc1,vc0) = */
/*    (3,0,0,0:vw2); (3,0,0,2:vw2); (3,1,0,0:vw2); (3,1,0,2:vw2); (3,2,0,0:vw2); (3,2,0,2:vw2); (3,3,0,0:vw2); (3,3,0,2:vw2) */
/******************************************/

/* calc coords, apply mask, and issue loads (if necessary) */
/* (d1,vc1,d0,vc0)=(3,0,0,0) */
/* (d1,vc1,d0,vc0)=(3,0,0,2) */
	;; [unrolled: 1-line block ×8, first 2 shown]
v_accvgpr_read_b32 v[vgprValuC+16], acc48 // copy acc to vreg[96]
v_accvgpr_read_b32 v[vgprValuC+17], acc112 // copy acc to vreg[97]
v_accvgpr_read_b32 v[vgprValuC+18], acc49 // copy acc to vreg[98]
v_accvgpr_read_b32 v[vgprValuC+19], acc113 // copy acc to vreg[99]
v_accvgpr_read_b32 v[vgprValuC+20], acc50 // copy acc to vreg[100]
v_accvgpr_read_b32 v[vgprValuC+21], acc114 // copy acc to vreg[101]
v_accvgpr_read_b32 v[vgprValuC+22], acc51 // copy acc to vreg[102]
v_accvgpr_read_b32 v[vgprValuC+23], acc115 // copy acc to vreg[103]
v_accvgpr_read_b32 v[vgprValuC+24], acc52 // copy acc to vreg[104]
v_accvgpr_read_b32 v[vgprValuC+25], acc116 // copy acc to vreg[105]
v_accvgpr_read_b32 v[vgprValuC+26], acc53 // copy acc to vreg[106]
v_accvgpr_read_b32 v[vgprValuC+27], acc117 // copy acc to vreg[107]
v_accvgpr_read_b32 v[vgprValuC+28], acc54 // copy acc to vreg[108]
v_accvgpr_read_b32 v[vgprValuC+29], acc118 // copy acc to vreg[109]
v_accvgpr_read_b32 v[vgprValuC+30], acc55 // copy acc to vreg[110]
v_accvgpr_read_b32 v[vgprValuC+31], acc119 // copy acc to vreg[111]
v_accvgpr_read_b32 v[vgprValuC+32], acc56 // copy acc to vreg[112]
v_accvgpr_read_b32 v[vgprValuC+33], acc120 // copy acc to vreg[113]
v_accvgpr_read_b32 v[vgprValuC+34], acc57 // copy acc to vreg[114]
v_accvgpr_read_b32 v[vgprValuC+35], acc121 // copy acc to vreg[115]
v_accvgpr_read_b32 v[vgprValuC+36], acc58 // copy acc to vreg[116]
v_accvgpr_read_b32 v[vgprValuC+37], acc122 // copy acc to vreg[117]
v_accvgpr_read_b32 v[vgprValuC+38], acc59 // copy acc to vreg[118]
v_accvgpr_read_b32 v[vgprValuC+39], acc123 // copy acc to vreg[119]
v_accvgpr_read_b32 v[vgprValuC+44], acc60 // copy acc to vreg[120]
v_accvgpr_read_b32 v[vgprValuC+45], acc124 // copy acc to vreg[121]
v_accvgpr_read_b32 v[vgprValuC+46], acc61 // copy acc to vreg[122]
v_accvgpr_read_b32 v[vgprValuC+47], acc125 // copy acc to vreg[123]
v_accvgpr_read_b32 v[vgprValuC+48], acc62 // copy acc to vreg[124]
v_accvgpr_read_b32 v[vgprValuC+49], acc126 // copy acc to vreg[125]
v_accvgpr_read_b32 v[vgprValuC+50], acc63 // copy acc to vreg[126]
v_accvgpr_read_b32 v[vgprValuC+51], acc127 // copy acc to vreg[127]
s_nop 1                                            // 2 wait states required before reading vgpr

/* rC *= alpha batchElements=[(3, 0, 0, 0), (3, 0, 0, 2), (3, 1, 0, 0), (3, 1, 0, 2), (3, 2, 0, 0), (3, 2, 0, 2), (3, 3, 0, 0), (3, 3, 0, 2)] */
v_mov_b32 v13, v[vgprValuC+16]                     // store Cr
v_mul_f32 v[vgprValuC+16], s[sgprAlpha], v[vgprValuC+16] // *= alpha ( Cr = Ar * Cr)
_v_mac_f32 v[vgprValuC+16], -s[sgprAlpha+1], v[vgprValuC+17] // *= alpha ( Cr += -Ai * Ci )
v_mul_f32 v[vgprValuC+17], s[sgprAlpha], v[vgprValuC+17] // *= alpha ( Ci = Ar * Ci)
_v_mac_f32 v[vgprValuC+17], s[sgprAlpha+1], v13    // *= alpha ( Ci += Ai * Cr_backup )
v_mov_b32 v13, v[vgprValuC+18]                     // store Cr
v_mul_f32 v[vgprValuC+18], s[sgprAlpha], v[vgprValuC+18] // *= alpha ( Cr = Ar * Cr)
_v_mac_f32 v[vgprValuC+18], -s[sgprAlpha+1], v[vgprValuC+19] // *= alpha ( Cr += -Ai * Ci )
v_mul_f32 v[vgprValuC+19], s[sgprAlpha], v[vgprValuC+19] // *= alpha ( Ci = Ar * Ci)
_v_mac_f32 v[vgprValuC+19], s[sgprAlpha+1], v13    // *= alpha ( Ci += Ai * Cr_backup )
v_mov_b32 v13, v[vgprValuC+20]                     // store Cr
v_mul_f32 v[vgprValuC+20], s[sgprAlpha], v[vgprValuC+20] // *= alpha ( Cr = Ar * Cr)
_v_mac_f32 v[vgprValuC+20], -s[sgprAlpha+1], v[vgprValuC+21] // *= alpha ( Cr += -Ai * Ci )
v_mul_f32 v[vgprValuC+21], s[sgprAlpha], v[vgprValuC+21] // *= alpha ( Ci = Ar * Ci)
_v_mac_f32 v[vgprValuC+21], s[sgprAlpha+1], v13    // *= alpha ( Ci += Ai * Cr_backup )
v_mov_b32 v13, v[vgprValuC+22]                     // store Cr
v_mul_f32 v[vgprValuC+22], s[sgprAlpha], v[vgprValuC+22] // *= alpha ( Cr = Ar * Cr)
_v_mac_f32 v[vgprValuC+22], -s[sgprAlpha+1], v[vgprValuC+23] // *= alpha ( Cr += -Ai * Ci )
v_mul_f32 v[vgprValuC+23], s[sgprAlpha], v[vgprValuC+23] // *= alpha ( Ci = Ar * Ci)
_v_mac_f32 v[vgprValuC+23], s[sgprAlpha+1], v13    // *= alpha ( Ci += Ai * Cr_backup )
v_mov_b32 v13, v[vgprValuC+24]                     // store Cr
v_mul_f32 v[vgprValuC+24], s[sgprAlpha], v[vgprValuC+24] // *= alpha ( Cr = Ar * Cr)
_v_mac_f32 v[vgprValuC+24], -s[sgprAlpha+1], v[vgprValuC+25] // *= alpha ( Cr += -Ai * Ci )
v_mul_f32 v[vgprValuC+25], s[sgprAlpha], v[vgprValuC+25] // *= alpha ( Ci = Ar * Ci)
_v_mac_f32 v[vgprValuC+25], s[sgprAlpha+1], v13    // *= alpha ( Ci += Ai * Cr_backup )
v_mov_b32 v13, v[vgprValuC+26]                     // store Cr
v_mul_f32 v[vgprValuC+26], s[sgprAlpha], v[vgprValuC+26] // *= alpha ( Cr = Ar * Cr)
_v_mac_f32 v[vgprValuC+26], -s[sgprAlpha+1], v[vgprValuC+27] // *= alpha ( Cr += -Ai * Ci )
v_mul_f32 v[vgprValuC+27], s[sgprAlpha], v[vgprValuC+27] // *= alpha ( Ci = Ar * Ci)
_v_mac_f32 v[vgprValuC+27], s[sgprAlpha+1], v13    // *= alpha ( Ci += Ai * Cr_backup )
v_mov_b32 v13, v[vgprValuC+28]                     // store Cr
v_mul_f32 v[vgprValuC+28], s[sgprAlpha], v[vgprValuC+28] // *= alpha ( Cr = Ar * Cr)
_v_mac_f32 v[vgprValuC+28], -s[sgprAlpha+1], v[vgprValuC+29] // *= alpha ( Cr += -Ai * Ci )
v_mul_f32 v[vgprValuC+29], s[sgprAlpha], v[vgprValuC+29] // *= alpha ( Ci = Ar * Ci)
_v_mac_f32 v[vgprValuC+29], s[sgprAlpha+1], v13    // *= alpha ( Ci += Ai * Cr_backup )
v_mov_b32 v13, v[vgprValuC+30]                     // store Cr
v_mul_f32 v[vgprValuC+30], s[sgprAlpha], v[vgprValuC+30] // *= alpha ( Cr = Ar * Cr)
_v_mac_f32 v[vgprValuC+30], -s[sgprAlpha+1], v[vgprValuC+31] // *= alpha ( Cr += -Ai * Ci )
v_mul_f32 v[vgprValuC+31], s[sgprAlpha], v[vgprValuC+31] // *= alpha ( Ci = Ar * Ci)
_v_mac_f32 v[vgprValuC+31], s[sgprAlpha+1], v13    // *= alpha ( Ci += Ai * Cr_backup )
v_mov_b32 v13, v[vgprValuC+32]                     // store Cr
v_mul_f32 v[vgprValuC+32], s[sgprAlpha], v[vgprValuC+32] // *= alpha ( Cr = Ar * Cr)
_v_mac_f32 v[vgprValuC+32], -s[sgprAlpha+1], v[vgprValuC+33] // *= alpha ( Cr += -Ai * Ci )
v_mul_f32 v[vgprValuC+33], s[sgprAlpha], v[vgprValuC+33] // *= alpha ( Ci = Ar * Ci)
_v_mac_f32 v[vgprValuC+33], s[sgprAlpha+1], v13    // *= alpha ( Ci += Ai * Cr_backup )
v_mov_b32 v13, v[vgprValuC+34]                     // store Cr
v_mul_f32 v[vgprValuC+34], s[sgprAlpha], v[vgprValuC+34] // *= alpha ( Cr = Ar * Cr)
_v_mac_f32 v[vgprValuC+34], -s[sgprAlpha+1], v[vgprValuC+35] // *= alpha ( Cr += -Ai * Ci )
v_mul_f32 v[vgprValuC+35], s[sgprAlpha], v[vgprValuC+35] // *= alpha ( Ci = Ar * Ci)
_v_mac_f32 v[vgprValuC+35], s[sgprAlpha+1], v13    // *= alpha ( Ci += Ai * Cr_backup )
v_mov_b32 v13, v[vgprValuC+36]                     // store Cr
v_mul_f32 v[vgprValuC+36], s[sgprAlpha], v[vgprValuC+36] // *= alpha ( Cr = Ar * Cr)
_v_mac_f32 v[vgprValuC+36], -s[sgprAlpha+1], v[vgprValuC+37] // *= alpha ( Cr += -Ai * Ci )
v_mul_f32 v[vgprValuC+37], s[sgprAlpha], v[vgprValuC+37] // *= alpha ( Ci = Ar * Ci)
_v_mac_f32 v[vgprValuC+37], s[sgprAlpha+1], v13    // *= alpha ( Ci += Ai * Cr_backup )
v_mov_b32 v13, v[vgprValuC+38]                     // store Cr
v_mul_f32 v[vgprValuC+38], s[sgprAlpha], v[vgprValuC+38] // *= alpha ( Cr = Ar * Cr)
_v_mac_f32 v[vgprValuC+38], -s[sgprAlpha+1], v[vgprValuC+39] // *= alpha ( Cr += -Ai * Ci )
v_mul_f32 v[vgprValuC+39], s[sgprAlpha], v[vgprValuC+39] // *= alpha ( Ci = Ar * Ci)
_v_mac_f32 v[vgprValuC+39], s[sgprAlpha+1], v13    // *= alpha ( Ci += Ai * Cr_backup )
v_mov_b32 v13, v[vgprValuC+44]                     // store Cr
v_mul_f32 v[vgprValuC+44], s[sgprAlpha], v[vgprValuC+44] // *= alpha ( Cr = Ar * Cr)
_v_mac_f32 v[vgprValuC+44], -s[sgprAlpha+1], v[vgprValuC+45] // *= alpha ( Cr += -Ai * Ci )
v_mul_f32 v[vgprValuC+45], s[sgprAlpha], v[vgprValuC+45] // *= alpha ( Ci = Ar * Ci)
_v_mac_f32 v[vgprValuC+45], s[sgprAlpha+1], v13    // *= alpha ( Ci += Ai * Cr_backup )
v_mov_b32 v13, v[vgprValuC+46]                     // store Cr
v_mul_f32 v[vgprValuC+46], s[sgprAlpha], v[vgprValuC+46] // *= alpha ( Cr = Ar * Cr)
_v_mac_f32 v[vgprValuC+46], -s[sgprAlpha+1], v[vgprValuC+47] // *= alpha ( Cr += -Ai * Ci )
v_mul_f32 v[vgprValuC+47], s[sgprAlpha], v[vgprValuC+47] // *= alpha ( Ci = Ar * Ci)
_v_mac_f32 v[vgprValuC+47], s[sgprAlpha+1], v13    // *= alpha ( Ci += Ai * Cr_backup )
v_mov_b32 v13, v[vgprValuC+48]                     // store Cr
v_mul_f32 v[vgprValuC+48], s[sgprAlpha], v[vgprValuC+48] // *= alpha ( Cr = Ar * Cr)
_v_mac_f32 v[vgprValuC+48], -s[sgprAlpha+1], v[vgprValuC+49] // *= alpha ( Cr += -Ai * Ci )
v_mul_f32 v[vgprValuC+49], s[sgprAlpha], v[vgprValuC+49] // *= alpha ( Ci = Ar * Ci)
_v_mac_f32 v[vgprValuC+49], s[sgprAlpha+1], v13    // *= alpha ( Ci += Ai * Cr_backup )
v_mov_b32 v13, v[vgprValuC+50]                     // store Cr
v_mul_f32 v[vgprValuC+50], s[sgprAlpha], v[vgprValuC+50] // *= alpha ( Cr = Ar * Cr)
_v_mac_f32 v[vgprValuC+50], -s[sgprAlpha+1], v[vgprValuC+51] // *= alpha ( Cr += -Ai * Ci )
v_mul_f32 v[vgprValuC+51], s[sgprAlpha], v[vgprValuC+51] // *= alpha ( Ci = Ar * Ci)
_v_mac_f32 v[vgprValuC+51], s[sgprAlpha+1], v13    // *= alpha ( Ci += Ai * Cr_backup )

/* apply mask, calc new C and issue writes */

/* StoreRemap: shift coord1 address */
s_mul_i32 s56, s[sgprStrideD1J], 256               // scale StrideD *= numRows(32) * bpe
s_add_u32  s[sgprSrdD+0], s[sgprSrdD+0], s56       // incToNextRow: gra SRD += inc(lower)
s_addc_u32  s[sgprSrdD+1], s[sgprSrdD+1], 0        // incToNextRow: gra SRD += inc(upper)
v_mov_b32 v10, 32                                  // set shift rows
_v_add_u32 v5, v5, v10                             // shift storeRemap coord1
_ds_store_b128 v7, v[16:19], offset:0              // storeRemap lw
_ds_store_b128 v7, v[20:23], offset:16             // storeRemap lw
_ds_store_b128 v7, v[24:27], offset:64             // storeRemap lw
	;; [unrolled: 1-line block ×3, first 2 shown]
_ds_store_b128 v7, v[32:35], offset:128            // storeRemap lw
_ds_store_b128 v7, v[36:39], offset:144            // storeRemap lw
	;; [unrolled: 1-line block ×4, first 2 shown]

/* Handle local read and global write */
s_waitcnt lgkmcnt(0)                               // wait for LDS write
s_barrier //wait all lds write finished

_ds_load_b128 v[16:19], v8, offset:0               // storeRemap lr
_ds_load_b128 v[20:23], v8, offset:1056            // storeRemap lr
_ds_load_b128 v[24:27], v8, offset:2112            // storeRemap lr
	;; [unrolled: 1-line block ×7, first 2 shown]

v_mov_b32 v13, v6                                  // coord1
v_mul_lo_u32 v13, v13, s[sgprStrideD1J]            // coord1 offset =  coord1 * StrideD
_v_add_lshl_u32 v13, v13, v4, 0x3                  // global write D address
s_waitcnt lgkmcnt(7)                               // wait for LDS read
_buffer_store_b128 v[16:19], v13, s[sgprSrdD:sgprSrdD+3], 0, offen, offset:0 // store D
_v_add_u32 v13, v6, 1                              // coord1 += nColPerLoad
v_mul_lo_u32 v13, v13, s[sgprStrideD1J]            // coord1 offset =  coord1 * StrideD
_v_add_lshl_u32 v13, v13, v4, 0x3                  // global write D address
s_waitcnt lgkmcnt(6)                               // wait for LDS read
_buffer_store_b128 v[20:23], v13, s[sgprSrdD:sgprSrdD+3], 0, offen, offset:0 // store D
_v_add_u32 v13, v6, 2                              // coord1 += nColPerLoad
	;; [unrolled: 5-line block ×7, first 2 shown]
v_mul_lo_u32 v13, v13, s[sgprStrideD1J]            // coord1 offset =  coord1 * StrideD
_v_add_lshl_u32 v13, v13, v4, 0x3                  // global write D address
s_waitcnt lgkmcnt(0)                               // wait for LDS read
_buffer_store_b128 v[48:51], v13, s[sgprSrdD:sgprSrdD+3], 0, offen, offset:0 // store D

s_barrier //wait all lds read finished
s_nop 0                                            // 1 wait state required when next inst writes vgprs held by previous dwordx4 store inst
s_branch label_GW_End_42                           // jump to end
GW_B0_E1_34:

/* edge=0, allocate 6 sgpr. perBatchTmpS=4 perBatchMaskS=2 perElementMaskS=0 elementsPerBatch=8 */
/* optSingleColVgpr=0 optSharedColVgpr=0 optSGPRUsage=BufferLoad_Edge_Mask optSrdIncForRow=1 */

/******************************************/
/* Global Write Alpha Edge Batch #0 (d1,d0,vc1,vc0) = */
/*    (0,0,0,0:vw2); (0,0,0,2:vw2); (0,1,0,0:vw2); (0,1,0,2:vw2); (0,2,0,0:vw2); (0,2,0,2:vw2); (0,3,0,0:vw2); (0,3,0,2:vw2) */
/******************************************/

/* calc coords, apply mask, and issue loads (if necessary) */
/* (d1,vc1,d0,vc0)=(0,0,0,0) */
_v_add_lshl_u32 v9, v3, v0, 0x3                    // scaleToBpe: accumulate d0 lower and *= bpe into Cin addr
/* (d1,vc1,d0,vc0)=(0,0,0,2) */
_v_add_co_u32 v10, vcc, v0, 2                      // coord0.1: coord0 += d0*sg0*VW + vc0
_v_add_lshl_u32 v16, v3, v10, 0x3                  // scaleToBpe: accumulate d0 lower and *= bpe into Cin addr
/* (d1,vc1,d0,vc0)=(0,0,1,0) */
_v_add_co_u32 v10, vcc, v0, 8                      // coord0.1: coord0 += d0*sg0*VW + vc0
_v_add_lshl_u32 v17, v3, v10, 0x3                  // scaleToBpe: accumulate d0 lower and *= bpe into Cin addr
/* (d1,vc1,d0,vc0)=(0,0,1,2) */
_v_add_co_u32 v10, vcc, v0, 10                     // coord0.1: coord0 += d0*sg0*VW + vc0
_v_add_lshl_u32 v18, v3, v10, 0x3                  // scaleToBpe: accumulate d0 lower and *= bpe into Cin addr
/* (d1,vc1,d0,vc0)=(0,0,2,0) */
_v_add_co_u32 v10, vcc, v0, 16                     // coord0.1: coord0 += d0*sg0*VW + vc0
	;; [unrolled: 3-line block ×5, first 2 shown]
_v_add_lshl_u32 v38, v3, v10, 0x3                  // scaleToBpe: accumulate d0 lower and *= bpe into Cin addr
v_accvgpr_read_b32 v[vgprValuC+12], acc0 // copy acc to vreg[0]
v_accvgpr_read_b32 v[vgprValuC+13], acc64 // copy acc to vreg[1]
v_accvgpr_read_b32 v[vgprValuC+14], acc1 // copy acc to vreg[2]
v_accvgpr_read_b32 v[vgprValuC+15], acc65 // copy acc to vreg[3]
v_accvgpr_read_b32 v[vgprValuC+20], acc2 // copy acc to vreg[4]
v_accvgpr_read_b32 v[vgprValuC+21], acc66 // copy acc to vreg[5]
v_accvgpr_read_b32 v[vgprValuC+22], acc3 // copy acc to vreg[6]
v_accvgpr_read_b32 v[vgprValuC+23], acc67 // copy acc to vreg[7]
v_accvgpr_read_b32 v[vgprValuC+24], acc4 // copy acc to vreg[8]
v_accvgpr_read_b32 v[vgprValuC+25], acc68 // copy acc to vreg[9]
v_accvgpr_read_b32 v[vgprValuC+26], acc5 // copy acc to vreg[10]
v_accvgpr_read_b32 v[vgprValuC+27], acc69 // copy acc to vreg[11]
v_accvgpr_read_b32 v[vgprValuC+28], acc6 // copy acc to vreg[12]
v_accvgpr_read_b32 v[vgprValuC+29], acc70 // copy acc to vreg[13]
v_accvgpr_read_b32 v[vgprValuC+30], acc7 // copy acc to vreg[14]
v_accvgpr_read_b32 v[vgprValuC+31], acc71 // copy acc to vreg[15]
v_accvgpr_read_b32 v[vgprValuC+32], acc8 // copy acc to vreg[16]
v_accvgpr_read_b32 v[vgprValuC+33], acc72 // copy acc to vreg[17]
v_accvgpr_read_b32 v[vgprValuC+34], acc9 // copy acc to vreg[18]
v_accvgpr_read_b32 v[vgprValuC+35], acc73 // copy acc to vreg[19]
v_accvgpr_read_b32 v[vgprValuC+44], acc10 // copy acc to vreg[20]
v_accvgpr_read_b32 v[vgprValuC+45], acc74 // copy acc to vreg[21]
v_accvgpr_read_b32 v[vgprValuC+46], acc11 // copy acc to vreg[22]
v_accvgpr_read_b32 v[vgprValuC+47], acc75 // copy acc to vreg[23]
v_accvgpr_read_b32 v[vgprValuC+48], acc12 // copy acc to vreg[24]
v_accvgpr_read_b32 v[vgprValuC+49], acc76 // copy acc to vreg[25]
v_accvgpr_read_b32 v[vgprValuC+50], acc13 // copy acc to vreg[26]
v_accvgpr_read_b32 v[vgprValuC+51], acc77 // copy acc to vreg[27]
v_accvgpr_read_b32 v[vgprValuC+52], acc14 // copy acc to vreg[28]
v_accvgpr_read_b32 v[vgprValuC+53], acc78 // copy acc to vreg[29]
v_accvgpr_read_b32 v[vgprValuC+54], acc15 // copy acc to vreg[30]
v_accvgpr_read_b32 v[vgprValuC+55], acc79 // copy acc to vreg[31]
s_nop 1                                            // 2 wait states required before reading vgpr

/* rC *= alpha batchElements=[(0, 0, 0, 0), (0, 0, 0, 2), (0, 1, 0, 0), (0, 1, 0, 2), (0, 2, 0, 0), (0, 2, 0, 2), (0, 3, 0, 0), (0, 3, 0, 2)] */
v_mov_b32 v39, v[vgprValuC+12]                     // store Cr
v_mul_f32 v[vgprValuC+12], s[sgprAlpha], v[vgprValuC+12] // *= alpha ( Cr = Ar * Cr)
_v_mac_f32 v[vgprValuC+12], -s[sgprAlpha+1], v[vgprValuC+13] // *= alpha ( Cr += -Ai * Ci )
v_mul_f32 v[vgprValuC+13], s[sgprAlpha], v[vgprValuC+13] // *= alpha ( Ci = Ar * Ci)
_v_mac_f32 v[vgprValuC+13], s[sgprAlpha+1], v39    // *= alpha ( Ci += Ai * Cr_backup )
v_mov_b32 v39, v[vgprValuC+14]                     // store Cr
v_mul_f32 v[vgprValuC+14], s[sgprAlpha], v[vgprValuC+14] // *= alpha ( Cr = Ar * Cr)
_v_mac_f32 v[vgprValuC+14], -s[sgprAlpha+1], v[vgprValuC+15] // *= alpha ( Cr += -Ai * Ci )
v_mul_f32 v[vgprValuC+15], s[sgprAlpha], v[vgprValuC+15] // *= alpha ( Ci = Ar * Ci)
_v_mac_f32 v[vgprValuC+15], s[sgprAlpha+1], v39    // *= alpha ( Ci += Ai * Cr_backup )
v_mov_b32 v39, v[vgprValuC+20]                     // store Cr
v_mul_f32 v[vgprValuC+20], s[sgprAlpha], v[vgprValuC+20] // *= alpha ( Cr = Ar * Cr)
_v_mac_f32 v[vgprValuC+20], -s[sgprAlpha+1], v[vgprValuC+21] // *= alpha ( Cr += -Ai * Ci )
v_mul_f32 v[vgprValuC+21], s[sgprAlpha], v[vgprValuC+21] // *= alpha ( Ci = Ar * Ci)
_v_mac_f32 v[vgprValuC+21], s[sgprAlpha+1], v39    // *= alpha ( Ci += Ai * Cr_backup )
v_mov_b32 v39, v[vgprValuC+22]                     // store Cr
v_mul_f32 v[vgprValuC+22], s[sgprAlpha], v[vgprValuC+22] // *= alpha ( Cr = Ar * Cr)
_v_mac_f32 v[vgprValuC+22], -s[sgprAlpha+1], v[vgprValuC+23] // *= alpha ( Cr += -Ai * Ci )
v_mul_f32 v[vgprValuC+23], s[sgprAlpha], v[vgprValuC+23] // *= alpha ( Ci = Ar * Ci)
_v_mac_f32 v[vgprValuC+23], s[sgprAlpha+1], v39    // *= alpha ( Ci += Ai * Cr_backup )
v_mov_b32 v39, v[vgprValuC+24]                     // store Cr
v_mul_f32 v[vgprValuC+24], s[sgprAlpha], v[vgprValuC+24] // *= alpha ( Cr = Ar * Cr)
_v_mac_f32 v[vgprValuC+24], -s[sgprAlpha+1], v[vgprValuC+25] // *= alpha ( Cr += -Ai * Ci )
v_mul_f32 v[vgprValuC+25], s[sgprAlpha], v[vgprValuC+25] // *= alpha ( Ci = Ar * Ci)
_v_mac_f32 v[vgprValuC+25], s[sgprAlpha+1], v39    // *= alpha ( Ci += Ai * Cr_backup )
v_mov_b32 v39, v[vgprValuC+26]                     // store Cr
v_mul_f32 v[vgprValuC+26], s[sgprAlpha], v[vgprValuC+26] // *= alpha ( Cr = Ar * Cr)
_v_mac_f32 v[vgprValuC+26], -s[sgprAlpha+1], v[vgprValuC+27] // *= alpha ( Cr += -Ai * Ci )
v_mul_f32 v[vgprValuC+27], s[sgprAlpha], v[vgprValuC+27] // *= alpha ( Ci = Ar * Ci)
_v_mac_f32 v[vgprValuC+27], s[sgprAlpha+1], v39    // *= alpha ( Ci += Ai * Cr_backup )
v_mov_b32 v39, v[vgprValuC+28]                     // store Cr
v_mul_f32 v[vgprValuC+28], s[sgprAlpha], v[vgprValuC+28] // *= alpha ( Cr = Ar * Cr)
_v_mac_f32 v[vgprValuC+28], -s[sgprAlpha+1], v[vgprValuC+29] // *= alpha ( Cr += -Ai * Ci )
v_mul_f32 v[vgprValuC+29], s[sgprAlpha], v[vgprValuC+29] // *= alpha ( Ci = Ar * Ci)
_v_mac_f32 v[vgprValuC+29], s[sgprAlpha+1], v39    // *= alpha ( Ci += Ai * Cr_backup )
v_mov_b32 v39, v[vgprValuC+30]                     // store Cr
v_mul_f32 v[vgprValuC+30], s[sgprAlpha], v[vgprValuC+30] // *= alpha ( Cr = Ar * Cr)
_v_mac_f32 v[vgprValuC+30], -s[sgprAlpha+1], v[vgprValuC+31] // *= alpha ( Cr += -Ai * Ci )
v_mul_f32 v[vgprValuC+31], s[sgprAlpha], v[vgprValuC+31] // *= alpha ( Ci = Ar * Ci)
_v_mac_f32 v[vgprValuC+31], s[sgprAlpha+1], v39    // *= alpha ( Ci += Ai * Cr_backup )
v_mov_b32 v39, v[vgprValuC+32]                     // store Cr
v_mul_f32 v[vgprValuC+32], s[sgprAlpha], v[vgprValuC+32] // *= alpha ( Cr = Ar * Cr)
_v_mac_f32 v[vgprValuC+32], -s[sgprAlpha+1], v[vgprValuC+33] // *= alpha ( Cr += -Ai * Ci )
v_mul_f32 v[vgprValuC+33], s[sgprAlpha], v[vgprValuC+33] // *= alpha ( Ci = Ar * Ci)
_v_mac_f32 v[vgprValuC+33], s[sgprAlpha+1], v39    // *= alpha ( Ci += Ai * Cr_backup )
v_mov_b32 v39, v[vgprValuC+34]                     // store Cr
v_mul_f32 v[vgprValuC+34], s[sgprAlpha], v[vgprValuC+34] // *= alpha ( Cr = Ar * Cr)
_v_mac_f32 v[vgprValuC+34], -s[sgprAlpha+1], v[vgprValuC+35] // *= alpha ( Cr += -Ai * Ci )
v_mul_f32 v[vgprValuC+35], s[sgprAlpha], v[vgprValuC+35] // *= alpha ( Ci = Ar * Ci)
_v_mac_f32 v[vgprValuC+35], s[sgprAlpha+1], v39    // *= alpha ( Ci += Ai * Cr_backup )
v_mov_b32 v39, v[vgprValuC+44]                     // store Cr
v_mul_f32 v[vgprValuC+44], s[sgprAlpha], v[vgprValuC+44] // *= alpha ( Cr = Ar * Cr)
_v_mac_f32 v[vgprValuC+44], -s[sgprAlpha+1], v[vgprValuC+45] // *= alpha ( Cr += -Ai * Ci )
v_mul_f32 v[vgprValuC+45], s[sgprAlpha], v[vgprValuC+45] // *= alpha ( Ci = Ar * Ci)
_v_mac_f32 v[vgprValuC+45], s[sgprAlpha+1], v39    // *= alpha ( Ci += Ai * Cr_backup )
v_mov_b32 v39, v[vgprValuC+46]                     // store Cr
v_mul_f32 v[vgprValuC+46], s[sgprAlpha], v[vgprValuC+46] // *= alpha ( Cr = Ar * Cr)
_v_mac_f32 v[vgprValuC+46], -s[sgprAlpha+1], v[vgprValuC+47] // *= alpha ( Cr += -Ai * Ci )
v_mul_f32 v[vgprValuC+47], s[sgprAlpha], v[vgprValuC+47] // *= alpha ( Ci = Ar * Ci)
_v_mac_f32 v[vgprValuC+47], s[sgprAlpha+1], v39    // *= alpha ( Ci += Ai * Cr_backup )
v_mov_b32 v39, v[vgprValuC+48]                     // store Cr
v_mul_f32 v[vgprValuC+48], s[sgprAlpha], v[vgprValuC+48] // *= alpha ( Cr = Ar * Cr)
_v_mac_f32 v[vgprValuC+48], -s[sgprAlpha+1], v[vgprValuC+49] // *= alpha ( Cr += -Ai * Ci )
v_mul_f32 v[vgprValuC+49], s[sgprAlpha], v[vgprValuC+49] // *= alpha ( Ci = Ar * Ci)
_v_mac_f32 v[vgprValuC+49], s[sgprAlpha+1], v39    // *= alpha ( Ci += Ai * Cr_backup )
v_mov_b32 v39, v[vgprValuC+50]                     // store Cr
v_mul_f32 v[vgprValuC+50], s[sgprAlpha], v[vgprValuC+50] // *= alpha ( Cr = Ar * Cr)
_v_mac_f32 v[vgprValuC+50], -s[sgprAlpha+1], v[vgprValuC+51] // *= alpha ( Cr += -Ai * Ci )
v_mul_f32 v[vgprValuC+51], s[sgprAlpha], v[vgprValuC+51] // *= alpha ( Ci = Ar * Ci)
_v_mac_f32 v[vgprValuC+51], s[sgprAlpha+1], v39    // *= alpha ( Ci += Ai * Cr_backup )
v_mov_b32 v39, v[vgprValuC+52]                     // store Cr
v_mul_f32 v[vgprValuC+52], s[sgprAlpha], v[vgprValuC+52] // *= alpha ( Cr = Ar * Cr)
_v_mac_f32 v[vgprValuC+52], -s[sgprAlpha+1], v[vgprValuC+53] // *= alpha ( Cr += -Ai * Ci )
v_mul_f32 v[vgprValuC+53], s[sgprAlpha], v[vgprValuC+53] // *= alpha ( Ci = Ar * Ci)
_v_mac_f32 v[vgprValuC+53], s[sgprAlpha+1], v39    // *= alpha ( Ci += Ai * Cr_backup )
v_mov_b32 v39, v[vgprValuC+54]                     // store Cr
v_mul_f32 v[vgprValuC+54], s[sgprAlpha], v[vgprValuC+54] // *= alpha ( Cr = Ar * Cr)
_v_mac_f32 v[vgprValuC+54], -s[sgprAlpha+1], v[vgprValuC+55] // *= alpha ( Cr += -Ai * Ci )
v_mul_f32 v[vgprValuC+55], s[sgprAlpha], v[vgprValuC+55] // *= alpha ( Ci = Ar * Ci)
_v_mac_f32 v[vgprValuC+55], s[sgprAlpha+1], v39    // *= alpha ( Ci += Ai * Cr_backup )

/* apply mask, calc new C and issue writes */
_ds_store_b128 v7, v[12:15], offset:0              // storeRemap lw
_ds_store_b128 v7, v[20:23], offset:16             // storeRemap lw
_ds_store_b128 v7, v[24:27], offset:64             // storeRemap lw
	;; [unrolled: 1-line block ×3, first 2 shown]
_ds_store_b128 v7, v[32:35], offset:128            // storeRemap lw
_ds_store_b128 v7, v[44:47], offset:144            // storeRemap lw
	;; [unrolled: 1-line block ×4, first 2 shown]

/* Handle local read and global write */
s_waitcnt lgkmcnt(0)                               // wait for LDS write
s_barrier //wait all lds write finished

_ds_load_b128 v[12:15], v8, offset:0               // storeRemap lr
_ds_load_b128 v[16:19], v8, offset:1056            // storeRemap lr
_ds_load_b128 v[20:23], v8, offset:2112            // storeRemap lr
	;; [unrolled: 1-line block ×7, first 2 shown]

s_waitcnt lgkmcnt(7)                               // wait for LDS read
_v_add_u32 v11, v5, 0                              // coord1 += nColPerLoad
_v_add_u32 v10, v4, 0                              // coord0 += element index of load vector
_v_add_u32 v9, v6, 0                               // offset coord1 += nColPerLoad
v_cmp_lt_u32 s[56:57], v10, s[sgprSizeI]           // coord0 < size0
v_cmp_lt_u32 s[58:59], v11, s[sgprSizeJ]           // coord1 < size1
s_and_b64 s[58:59], s[56:57], s[58:59]             // in0 && in1
v_mul_lo_u32 v9, v9, s[sgprStrideD1J]              // coord1 element offset =  coord1 * StrideD
_v_add_lshl_u32 v9, v9, v10, 0x3                   // scale to BPE
v_cndmask_b32 v9, -1, v9, s[58:59]                 // clip if OOB. offset
_buffer_store_b64 v[12:13], v9, s[sgprSrdD:sgprSrdD+3], 0, offen, offset:0 // store D
_v_add_u32 v11, v5, 0                              // coord1 += nColPerLoad
_v_add_u32 v10, v4, 1                              // coord0 += element index of load vector
_v_add_u32 v9, v6, 0                               // offset coord1 += nColPerLoad
v_cmp_lt_u32 s[56:57], v10, s[sgprSizeI]           // coord0 < size0
v_cmp_lt_u32 s[58:59], v11, s[sgprSizeJ]           // coord1 < size1
s_and_b64 s[58:59], s[56:57], s[58:59]             // in0 && in1
v_mul_lo_u32 v9, v9, s[sgprStrideD1J]              // coord1 element offset =  coord1 * StrideD
_v_add_lshl_u32 v9, v9, v10, 0x3                   // scale to BPE
v_cndmask_b32 v9, -1, v9, s[58:59]                 // clip if OOB. offset
_buffer_store_b64 v[14:15], v9, s[sgprSrdD:sgprSrdD+3], 0, offen, offset:0 // store D
s_waitcnt lgkmcnt(6)                               // wait for LDS read
_v_add_u32 v11, v5, 1                              // coord1 += nColPerLoad
_v_add_u32 v10, v4, 0                              // coord0 += element index of load vector
_v_add_u32 v9, v6, 1                               // offset coord1 += nColPerLoad
v_cmp_lt_u32 s[56:57], v10, s[sgprSizeI]           // coord0 < size0
v_cmp_lt_u32 s[58:59], v11, s[sgprSizeJ]           // coord1 < size1
s_and_b64 s[58:59], s[56:57], s[58:59]             // in0 && in1
v_mul_lo_u32 v9, v9, s[sgprStrideD1J]              // coord1 element offset =  coord1 * StrideD
_v_add_lshl_u32 v9, v9, v10, 0x3                   // scale to BPE
v_cndmask_b32 v9, -1, v9, s[58:59]                 // clip if OOB. offset
_buffer_store_b64 v[16:17], v9, s[sgprSrdD:sgprSrdD+3], 0, offen, offset:0 // store D
_v_add_u32 v11, v5, 1                              // coord1 += nColPerLoad
_v_add_u32 v10, v4, 1                              // coord0 += element index of load vector
_v_add_u32 v9, v6, 1                               // offset coord1 += nColPerLoad
v_cmp_lt_u32 s[56:57], v10, s[sgprSizeI]           // coord0 < size0
v_cmp_lt_u32 s[58:59], v11, s[sgprSizeJ]           // coord1 < size1
s_and_b64 s[58:59], s[56:57], s[58:59]             // in0 && in1
v_mul_lo_u32 v9, v9, s[sgprStrideD1J]              // coord1 element offset =  coord1 * StrideD
_v_add_lshl_u32 v9, v9, v10, 0x3                   // scale to BPE
v_cndmask_b32 v9, -1, v9, s[58:59]                 // clip if OOB. offset
_buffer_store_b64 v[18:19], v9, s[sgprSrdD:sgprSrdD+3], 0, offen, offset:0 // store D
	;; [unrolled: 21-line block ×8, first 2 shown]

s_barrier //wait all lds read finished
s_nop 0                                            // 1 wait state required when next inst writes vgprs held by previous dwordx4 store inst
/* optSingleColVgpr=0 optSharedColVgpr=0 optSGPRUsage=BufferLoad_Edge_Mask optSrdIncForRow=1 */

/******************************************/
/* Global Write Alpha Edge Batch #1 (d1,d0,vc1,vc0) = */
/*    (1,0,0,0:vw2); (1,0,0,2:vw2); (1,1,0,0:vw2); (1,1,0,2:vw2); (1,2,0,0:vw2); (1,2,0,2:vw2); (1,3,0,0:vw2); (1,3,0,2:vw2) */
/******************************************/

/* calc coords, apply mask, and issue loads (if necessary) */
/* (d1,vc1,d0,vc0)=(1,0,0,0) */
_v_add_co_u32 v1, vcc, v1, 32                      // coord1.1: coord1Vgpr += d1*sg1*VW + vc1
_v_add_lshl_u32 v9, v3, v0, 0x3                    // scaleToBpe: accumulate d0 lower and *= bpe into Cin addr
/* (d1,vc1,d0,vc0)=(1,0,0,2) */
_v_add_co_u32 v10, vcc, v0, 2                      // coord0.1: coord0 += d0*sg0*VW + vc0
_v_add_lshl_u32 v16, v3, v10, 0x3                  // scaleToBpe: accumulate d0 lower and *= bpe into Cin addr
/* (d1,vc1,d0,vc0)=(1,0,1,0) */
_v_add_co_u32 v10, vcc, v0, 8                      // coord0.1: coord0 += d0*sg0*VW + vc0
_v_add_lshl_u32 v17, v3, v10, 0x3                  // scaleToBpe: accumulate d0 lower and *= bpe into Cin addr
/* (d1,vc1,d0,vc0)=(1,0,1,2) */
_v_add_co_u32 v10, vcc, v0, 10                     // coord0.1: coord0 += d0*sg0*VW + vc0
_v_add_lshl_u32 v18, v3, v10, 0x3                  // scaleToBpe: accumulate d0 lower and *= bpe into Cin addr
/* (d1,vc1,d0,vc0)=(1,0,2,0) */
_v_add_co_u32 v10, vcc, v0, 16                     // coord0.1: coord0 += d0*sg0*VW + vc0
	;; [unrolled: 3-line block ×5, first 2 shown]
_v_add_lshl_u32 v38, v3, v10, 0x3                  // scaleToBpe: accumulate d0 lower and *= bpe into Cin addr
v_accvgpr_read_b32 v[vgprValuC+12], acc16 // copy acc to vreg[32]
v_accvgpr_read_b32 v[vgprValuC+13], acc80 // copy acc to vreg[33]
v_accvgpr_read_b32 v[vgprValuC+14], acc17 // copy acc to vreg[34]
v_accvgpr_read_b32 v[vgprValuC+15], acc81 // copy acc to vreg[35]
v_accvgpr_read_b32 v[vgprValuC+20], acc18 // copy acc to vreg[36]
v_accvgpr_read_b32 v[vgprValuC+21], acc82 // copy acc to vreg[37]
v_accvgpr_read_b32 v[vgprValuC+22], acc19 // copy acc to vreg[38]
v_accvgpr_read_b32 v[vgprValuC+23], acc83 // copy acc to vreg[39]
v_accvgpr_read_b32 v[vgprValuC+24], acc20 // copy acc to vreg[40]
v_accvgpr_read_b32 v[vgprValuC+25], acc84 // copy acc to vreg[41]
v_accvgpr_read_b32 v[vgprValuC+26], acc21 // copy acc to vreg[42]
v_accvgpr_read_b32 v[vgprValuC+27], acc85 // copy acc to vreg[43]
v_accvgpr_read_b32 v[vgprValuC+28], acc22 // copy acc to vreg[44]
v_accvgpr_read_b32 v[vgprValuC+29], acc86 // copy acc to vreg[45]
v_accvgpr_read_b32 v[vgprValuC+30], acc23 // copy acc to vreg[46]
v_accvgpr_read_b32 v[vgprValuC+31], acc87 // copy acc to vreg[47]
v_accvgpr_read_b32 v[vgprValuC+32], acc24 // copy acc to vreg[48]
v_accvgpr_read_b32 v[vgprValuC+33], acc88 // copy acc to vreg[49]
v_accvgpr_read_b32 v[vgprValuC+34], acc25 // copy acc to vreg[50]
v_accvgpr_read_b32 v[vgprValuC+35], acc89 // copy acc to vreg[51]
v_accvgpr_read_b32 v[vgprValuC+44], acc26 // copy acc to vreg[52]
v_accvgpr_read_b32 v[vgprValuC+45], acc90 // copy acc to vreg[53]
v_accvgpr_read_b32 v[vgprValuC+46], acc27 // copy acc to vreg[54]
v_accvgpr_read_b32 v[vgprValuC+47], acc91 // copy acc to vreg[55]
v_accvgpr_read_b32 v[vgprValuC+48], acc28 // copy acc to vreg[56]
v_accvgpr_read_b32 v[vgprValuC+49], acc92 // copy acc to vreg[57]
v_accvgpr_read_b32 v[vgprValuC+50], acc29 // copy acc to vreg[58]
v_accvgpr_read_b32 v[vgprValuC+51], acc93 // copy acc to vreg[59]
v_accvgpr_read_b32 v[vgprValuC+52], acc30 // copy acc to vreg[60]
v_accvgpr_read_b32 v[vgprValuC+53], acc94 // copy acc to vreg[61]
v_accvgpr_read_b32 v[vgprValuC+54], acc31 // copy acc to vreg[62]
v_accvgpr_read_b32 v[vgprValuC+55], acc95 // copy acc to vreg[63]
s_nop 1                                            // 2 wait states required before reading vgpr

/* rC *= alpha batchElements=[(1, 0, 0, 0), (1, 0, 0, 2), (1, 1, 0, 0), (1, 1, 0, 2), (1, 2, 0, 0), (1, 2, 0, 2), (1, 3, 0, 0), (1, 3, 0, 2)] */
v_mov_b32 v39, v[vgprValuC+12]                     // store Cr
v_mul_f32 v[vgprValuC+12], s[sgprAlpha], v[vgprValuC+12] // *= alpha ( Cr = Ar * Cr)
_v_mac_f32 v[vgprValuC+12], -s[sgprAlpha+1], v[vgprValuC+13] // *= alpha ( Cr += -Ai * Ci )
v_mul_f32 v[vgprValuC+13], s[sgprAlpha], v[vgprValuC+13] // *= alpha ( Ci = Ar * Ci)
_v_mac_f32 v[vgprValuC+13], s[sgprAlpha+1], v39    // *= alpha ( Ci += Ai * Cr_backup )
v_mov_b32 v39, v[vgprValuC+14]                     // store Cr
v_mul_f32 v[vgprValuC+14], s[sgprAlpha], v[vgprValuC+14] // *= alpha ( Cr = Ar * Cr)
_v_mac_f32 v[vgprValuC+14], -s[sgprAlpha+1], v[vgprValuC+15] // *= alpha ( Cr += -Ai * Ci )
v_mul_f32 v[vgprValuC+15], s[sgprAlpha], v[vgprValuC+15] // *= alpha ( Ci = Ar * Ci)
_v_mac_f32 v[vgprValuC+15], s[sgprAlpha+1], v39    // *= alpha ( Ci += Ai * Cr_backup )
	;; [unrolled: 5-line block ×16, first 2 shown]

/* apply mask, calc new C and issue writes */

/* StoreRemap: shift coord1 address */
s_mul_i32 s56, s[sgprStrideD1J], 256               // scale StrideD *= numRows(32) * bpe
s_add_u32  s[sgprSrdD+0], s[sgprSrdD+0], s56       // incToNextRow: gra SRD += inc(lower)
s_addc_u32  s[sgprSrdD+1], s[sgprSrdD+1], 0        // incToNextRow: gra SRD += inc(upper)
v_mov_b32 v10, 32                                  // set shift rows
_v_add_u32 v5, v5, v10                             // shift storeRemap coord1
_ds_store_b128 v7, v[12:15], offset:0              // storeRemap lw
_ds_store_b128 v7, v[20:23], offset:16             // storeRemap lw
_ds_store_b128 v7, v[24:27], offset:64             // storeRemap lw
	;; [unrolled: 1-line block ×3, first 2 shown]
_ds_store_b128 v7, v[32:35], offset:128            // storeRemap lw
_ds_store_b128 v7, v[44:47], offset:144            // storeRemap lw
	;; [unrolled: 1-line block ×4, first 2 shown]

/* Handle local read and global write */
s_waitcnt lgkmcnt(0)                               // wait for LDS write
s_barrier //wait all lds write finished

_ds_load_b128 v[12:15], v8, offset:0               // storeRemap lr
_ds_load_b128 v[16:19], v8, offset:1056            // storeRemap lr
_ds_load_b128 v[20:23], v8, offset:2112            // storeRemap lr
	;; [unrolled: 1-line block ×7, first 2 shown]

s_waitcnt lgkmcnt(7)                               // wait for LDS read
_v_add_u32 v11, v5, 0                              // coord1 += nColPerLoad
_v_add_u32 v10, v4, 0                              // coord0 += element index of load vector
_v_add_u32 v9, v6, 0                               // offset coord1 += nColPerLoad
v_cmp_lt_u32 s[56:57], v10, s[sgprSizeI]           // coord0 < size0
v_cmp_lt_u32 s[58:59], v11, s[sgprSizeJ]           // coord1 < size1
s_and_b64 s[58:59], s[56:57], s[58:59]             // in0 && in1
v_mul_lo_u32 v9, v9, s[sgprStrideD1J]              // coord1 element offset =  coord1 * StrideD
_v_add_lshl_u32 v9, v9, v10, 0x3                   // scale to BPE
v_cndmask_b32 v9, -1, v9, s[58:59]                 // clip if OOB. offset
_buffer_store_b64 v[12:13], v9, s[sgprSrdD:sgprSrdD+3], 0, offen, offset:0 // store D
_v_add_u32 v11, v5, 0                              // coord1 += nColPerLoad
_v_add_u32 v10, v4, 1                              // coord0 += element index of load vector
_v_add_u32 v9, v6, 0                               // offset coord1 += nColPerLoad
v_cmp_lt_u32 s[56:57], v10, s[sgprSizeI]           // coord0 < size0
v_cmp_lt_u32 s[58:59], v11, s[sgprSizeJ]           // coord1 < size1
s_and_b64 s[58:59], s[56:57], s[58:59]             // in0 && in1
v_mul_lo_u32 v9, v9, s[sgprStrideD1J]              // coord1 element offset =  coord1 * StrideD
_v_add_lshl_u32 v9, v9, v10, 0x3                   // scale to BPE
v_cndmask_b32 v9, -1, v9, s[58:59]                 // clip if OOB. offset
_buffer_store_b64 v[14:15], v9, s[sgprSrdD:sgprSrdD+3], 0, offen, offset:0 // store D
s_waitcnt lgkmcnt(6)                               // wait for LDS read
_v_add_u32 v11, v5, 1                              // coord1 += nColPerLoad
_v_add_u32 v10, v4, 0                              // coord0 += element index of load vector
_v_add_u32 v9, v6, 1                               // offset coord1 += nColPerLoad
v_cmp_lt_u32 s[56:57], v10, s[sgprSizeI]           // coord0 < size0
v_cmp_lt_u32 s[58:59], v11, s[sgprSizeJ]           // coord1 < size1
s_and_b64 s[58:59], s[56:57], s[58:59]             // in0 && in1
v_mul_lo_u32 v9, v9, s[sgprStrideD1J]              // coord1 element offset =  coord1 * StrideD
_v_add_lshl_u32 v9, v9, v10, 0x3                   // scale to BPE
v_cndmask_b32 v9, -1, v9, s[58:59]                 // clip if OOB. offset
_buffer_store_b64 v[16:17], v9, s[sgprSrdD:sgprSrdD+3], 0, offen, offset:0 // store D
_v_add_u32 v11, v5, 1                              // coord1 += nColPerLoad
_v_add_u32 v10, v4, 1                              // coord0 += element index of load vector
_v_add_u32 v9, v6, 1                               // offset coord1 += nColPerLoad
v_cmp_lt_u32 s[56:57], v10, s[sgprSizeI]           // coord0 < size0
v_cmp_lt_u32 s[58:59], v11, s[sgprSizeJ]           // coord1 < size1
s_and_b64 s[58:59], s[56:57], s[58:59]             // in0 && in1
v_mul_lo_u32 v9, v9, s[sgprStrideD1J]              // coord1 element offset =  coord1 * StrideD
_v_add_lshl_u32 v9, v9, v10, 0x3                   // scale to BPE
v_cndmask_b32 v9, -1, v9, s[58:59]                 // clip if OOB. offset
_buffer_store_b64 v[18:19], v9, s[sgprSrdD:sgprSrdD+3], 0, offen, offset:0 // store D
	;; [unrolled: 21-line block ×8, first 2 shown]

s_barrier //wait all lds read finished
s_nop 0                                            // 1 wait state required when next inst writes vgprs held by previous dwordx4 store inst
/* optSingleColVgpr=0 optSharedColVgpr=0 optSGPRUsage=BufferLoad_Edge_Mask optSrdIncForRow=1 */

/******************************************/
/* Global Write Alpha Edge Batch #2 (d1,d0,vc1,vc0) = */
/*    (2,0,0,0:vw2); (2,0,0,2:vw2); (2,1,0,0:vw2); (2,1,0,2:vw2); (2,2,0,0:vw2); (2,2,0,2:vw2); (2,3,0,0:vw2); (2,3,0,2:vw2) */
/******************************************/

/* calc coords, apply mask, and issue loads (if necessary) */
/* (d1,vc1,d0,vc0)=(2,0,0,0) */
_v_add_co_u32 v1, vcc, v1, 32                      // coord1.1: coord1Vgpr += d1*sg1*VW + vc1
_v_add_lshl_u32 v9, v3, v0, 0x3                    // scaleToBpe: accumulate d0 lower and *= bpe into Cin addr
/* (d1,vc1,d0,vc0)=(2,0,0,2) */
_v_add_co_u32 v10, vcc, v0, 2                      // coord0.1: coord0 += d0*sg0*VW + vc0
_v_add_lshl_u32 v16, v3, v10, 0x3                  // scaleToBpe: accumulate d0 lower and *= bpe into Cin addr
/* (d1,vc1,d0,vc0)=(2,0,1,0) */
_v_add_co_u32 v10, vcc, v0, 8                      // coord0.1: coord0 += d0*sg0*VW + vc0
_v_add_lshl_u32 v17, v3, v10, 0x3                  // scaleToBpe: accumulate d0 lower and *= bpe into Cin addr
/* (d1,vc1,d0,vc0)=(2,0,1,2) */
_v_add_co_u32 v10, vcc, v0, 10                     // coord0.1: coord0 += d0*sg0*VW + vc0
_v_add_lshl_u32 v18, v3, v10, 0x3                  // scaleToBpe: accumulate d0 lower and *= bpe into Cin addr
/* (d1,vc1,d0,vc0)=(2,0,2,0) */
_v_add_co_u32 v10, vcc, v0, 16                     // coord0.1: coord0 += d0*sg0*VW + vc0
	;; [unrolled: 3-line block ×5, first 2 shown]
_v_add_lshl_u32 v38, v3, v10, 0x3                  // scaleToBpe: accumulate d0 lower and *= bpe into Cin addr
v_accvgpr_read_b32 v[vgprValuC+12], acc32 // copy acc to vreg[64]
v_accvgpr_read_b32 v[vgprValuC+13], acc96 // copy acc to vreg[65]
v_accvgpr_read_b32 v[vgprValuC+14], acc33 // copy acc to vreg[66]
v_accvgpr_read_b32 v[vgprValuC+15], acc97 // copy acc to vreg[67]
v_accvgpr_read_b32 v[vgprValuC+20], acc34 // copy acc to vreg[68]
v_accvgpr_read_b32 v[vgprValuC+21], acc98 // copy acc to vreg[69]
v_accvgpr_read_b32 v[vgprValuC+22], acc35 // copy acc to vreg[70]
v_accvgpr_read_b32 v[vgprValuC+23], acc99 // copy acc to vreg[71]
v_accvgpr_read_b32 v[vgprValuC+24], acc36 // copy acc to vreg[72]
v_accvgpr_read_b32 v[vgprValuC+25], acc100 // copy acc to vreg[73]
v_accvgpr_read_b32 v[vgprValuC+26], acc37 // copy acc to vreg[74]
v_accvgpr_read_b32 v[vgprValuC+27], acc101 // copy acc to vreg[75]
v_accvgpr_read_b32 v[vgprValuC+28], acc38 // copy acc to vreg[76]
v_accvgpr_read_b32 v[vgprValuC+29], acc102 // copy acc to vreg[77]
v_accvgpr_read_b32 v[vgprValuC+30], acc39 // copy acc to vreg[78]
v_accvgpr_read_b32 v[vgprValuC+31], acc103 // copy acc to vreg[79]
v_accvgpr_read_b32 v[vgprValuC+32], acc40 // copy acc to vreg[80]
v_accvgpr_read_b32 v[vgprValuC+33], acc104 // copy acc to vreg[81]
v_accvgpr_read_b32 v[vgprValuC+34], acc41 // copy acc to vreg[82]
v_accvgpr_read_b32 v[vgprValuC+35], acc105 // copy acc to vreg[83]
v_accvgpr_read_b32 v[vgprValuC+44], acc42 // copy acc to vreg[84]
v_accvgpr_read_b32 v[vgprValuC+45], acc106 // copy acc to vreg[85]
v_accvgpr_read_b32 v[vgprValuC+46], acc43 // copy acc to vreg[86]
v_accvgpr_read_b32 v[vgprValuC+47], acc107 // copy acc to vreg[87]
v_accvgpr_read_b32 v[vgprValuC+48], acc44 // copy acc to vreg[88]
v_accvgpr_read_b32 v[vgprValuC+49], acc108 // copy acc to vreg[89]
v_accvgpr_read_b32 v[vgprValuC+50], acc45 // copy acc to vreg[90]
v_accvgpr_read_b32 v[vgprValuC+51], acc109 // copy acc to vreg[91]
v_accvgpr_read_b32 v[vgprValuC+52], acc46 // copy acc to vreg[92]
v_accvgpr_read_b32 v[vgprValuC+53], acc110 // copy acc to vreg[93]
v_accvgpr_read_b32 v[vgprValuC+54], acc47 // copy acc to vreg[94]
v_accvgpr_read_b32 v[vgprValuC+55], acc111 // copy acc to vreg[95]
s_nop 1                                            // 2 wait states required before reading vgpr

/* rC *= alpha batchElements=[(2, 0, 0, 0), (2, 0, 0, 2), (2, 1, 0, 0), (2, 1, 0, 2), (2, 2, 0, 0), (2, 2, 0, 2), (2, 3, 0, 0), (2, 3, 0, 2)] */
v_mov_b32 v39, v[vgprValuC+12]                     // store Cr
v_mul_f32 v[vgprValuC+12], s[sgprAlpha], v[vgprValuC+12] // *= alpha ( Cr = Ar * Cr)
_v_mac_f32 v[vgprValuC+12], -s[sgprAlpha+1], v[vgprValuC+13] // *= alpha ( Cr += -Ai * Ci )
v_mul_f32 v[vgprValuC+13], s[sgprAlpha], v[vgprValuC+13] // *= alpha ( Ci = Ar * Ci)
_v_mac_f32 v[vgprValuC+13], s[sgprAlpha+1], v39    // *= alpha ( Ci += Ai * Cr_backup )
v_mov_b32 v39, v[vgprValuC+14]                     // store Cr
v_mul_f32 v[vgprValuC+14], s[sgprAlpha], v[vgprValuC+14] // *= alpha ( Cr = Ar * Cr)
_v_mac_f32 v[vgprValuC+14], -s[sgprAlpha+1], v[vgprValuC+15] // *= alpha ( Cr += -Ai * Ci )
v_mul_f32 v[vgprValuC+15], s[sgprAlpha], v[vgprValuC+15] // *= alpha ( Ci = Ar * Ci)
_v_mac_f32 v[vgprValuC+15], s[sgprAlpha+1], v39    // *= alpha ( Ci += Ai * Cr_backup )
	;; [unrolled: 5-line block ×16, first 2 shown]

/* apply mask, calc new C and issue writes */

/* StoreRemap: shift coord1 address */
s_mul_i32 s56, s[sgprStrideD1J], 256               // scale StrideD *= numRows(32) * bpe
s_add_u32  s[sgprSrdD+0], s[sgprSrdD+0], s56       // incToNextRow: gra SRD += inc(lower)
s_addc_u32  s[sgprSrdD+1], s[sgprSrdD+1], 0        // incToNextRow: gra SRD += inc(upper)
v_mov_b32 v10, 32                                  // set shift rows
_v_add_u32 v5, v5, v10                             // shift storeRemap coord1
_ds_store_b128 v7, v[12:15], offset:0              // storeRemap lw
_ds_store_b128 v7, v[20:23], offset:16             // storeRemap lw
_ds_store_b128 v7, v[24:27], offset:64             // storeRemap lw
	;; [unrolled: 1-line block ×3, first 2 shown]
_ds_store_b128 v7, v[32:35], offset:128            // storeRemap lw
_ds_store_b128 v7, v[44:47], offset:144            // storeRemap lw
_ds_store_b128 v7, v[48:51], offset:192            // storeRemap lw
_ds_store_b128 v7, v[52:55], offset:208            // storeRemap lw

/* Handle local read and global write */
s_waitcnt lgkmcnt(0)                               // wait for LDS write
s_barrier //wait all lds write finished

_ds_load_b128 v[12:15], v8, offset:0               // storeRemap lr
_ds_load_b128 v[16:19], v8, offset:1056            // storeRemap lr
_ds_load_b128 v[20:23], v8, offset:2112            // storeRemap lr
	;; [unrolled: 1-line block ×7, first 2 shown]

s_waitcnt lgkmcnt(7)                               // wait for LDS read
_v_add_u32 v11, v5, 0                              // coord1 += nColPerLoad
_v_add_u32 v10, v4, 0                              // coord0 += element index of load vector
_v_add_u32 v9, v6, 0                               // offset coord1 += nColPerLoad
v_cmp_lt_u32 s[56:57], v10, s[sgprSizeI]           // coord0 < size0
v_cmp_lt_u32 s[58:59], v11, s[sgprSizeJ]           // coord1 < size1
s_and_b64 s[58:59], s[56:57], s[58:59]             // in0 && in1
v_mul_lo_u32 v9, v9, s[sgprStrideD1J]              // coord1 element offset =  coord1 * StrideD
_v_add_lshl_u32 v9, v9, v10, 0x3                   // scale to BPE
v_cndmask_b32 v9, -1, v9, s[58:59]                 // clip if OOB. offset
_buffer_store_b64 v[12:13], v9, s[sgprSrdD:sgprSrdD+3], 0, offen, offset:0 // store D
_v_add_u32 v11, v5, 0                              // coord1 += nColPerLoad
_v_add_u32 v10, v4, 1                              // coord0 += element index of load vector
_v_add_u32 v9, v6, 0                               // offset coord1 += nColPerLoad
v_cmp_lt_u32 s[56:57], v10, s[sgprSizeI]           // coord0 < size0
v_cmp_lt_u32 s[58:59], v11, s[sgprSizeJ]           // coord1 < size1
s_and_b64 s[58:59], s[56:57], s[58:59]             // in0 && in1
v_mul_lo_u32 v9, v9, s[sgprStrideD1J]              // coord1 element offset =  coord1 * StrideD
_v_add_lshl_u32 v9, v9, v10, 0x3                   // scale to BPE
v_cndmask_b32 v9, -1, v9, s[58:59]                 // clip if OOB. offset
_buffer_store_b64 v[14:15], v9, s[sgprSrdD:sgprSrdD+3], 0, offen, offset:0 // store D
s_waitcnt lgkmcnt(6)                               // wait for LDS read
_v_add_u32 v11, v5, 1                              // coord1 += nColPerLoad
_v_add_u32 v10, v4, 0                              // coord0 += element index of load vector
_v_add_u32 v9, v6, 1                               // offset coord1 += nColPerLoad
v_cmp_lt_u32 s[56:57], v10, s[sgprSizeI]           // coord0 < size0
v_cmp_lt_u32 s[58:59], v11, s[sgprSizeJ]           // coord1 < size1
s_and_b64 s[58:59], s[56:57], s[58:59]             // in0 && in1
v_mul_lo_u32 v9, v9, s[sgprStrideD1J]              // coord1 element offset =  coord1 * StrideD
_v_add_lshl_u32 v9, v9, v10, 0x3                   // scale to BPE
v_cndmask_b32 v9, -1, v9, s[58:59]                 // clip if OOB. offset
_buffer_store_b64 v[16:17], v9, s[sgprSrdD:sgprSrdD+3], 0, offen, offset:0 // store D
_v_add_u32 v11, v5, 1                              // coord1 += nColPerLoad
_v_add_u32 v10, v4, 1                              // coord0 += element index of load vector
_v_add_u32 v9, v6, 1                               // offset coord1 += nColPerLoad
v_cmp_lt_u32 s[56:57], v10, s[sgprSizeI]           // coord0 < size0
v_cmp_lt_u32 s[58:59], v11, s[sgprSizeJ]           // coord1 < size1
s_and_b64 s[58:59], s[56:57], s[58:59]             // in0 && in1
v_mul_lo_u32 v9, v9, s[sgprStrideD1J]              // coord1 element offset =  coord1 * StrideD
_v_add_lshl_u32 v9, v9, v10, 0x3                   // scale to BPE
v_cndmask_b32 v9, -1, v9, s[58:59]                 // clip if OOB. offset
_buffer_store_b64 v[18:19], v9, s[sgprSrdD:sgprSrdD+3], 0, offen, offset:0 // store D
	;; [unrolled: 21-line block ×8, first 2 shown]

s_barrier //wait all lds read finished
s_nop 0                                            // 1 wait state required when next inst writes vgprs held by previous dwordx4 store inst
/* optSingleColVgpr=0 optSharedColVgpr=0 optSGPRUsage=BufferLoad_Edge_Mask optSrdIncForRow=1 */

/******************************************/
/* Global Write Alpha Edge Batch #3 (d1,d0,vc1,vc0) = */
/*    (3,0,0,0:vw2); (3,0,0,2:vw2); (3,1,0,0:vw2); (3,1,0,2:vw2); (3,2,0,0:vw2); (3,2,0,2:vw2); (3,3,0,0:vw2); (3,3,0,2:vw2) */
/******************************************/

/* calc coords, apply mask, and issue loads (if necessary) */
/* (d1,vc1,d0,vc0)=(3,0,0,0) */
_v_add_co_u32 v1, vcc, v1, 32                      // coord1.1: coord1Vgpr += d1*sg1*VW + vc1
_v_add_lshl_u32 v9, v3, v0, 0x3                    // scaleToBpe: accumulate d0 lower and *= bpe into Cin addr
/* (d1,vc1,d0,vc0)=(3,0,0,2) */
_v_add_co_u32 v10, vcc, v0, 2                      // coord0.1: coord0 += d0*sg0*VW + vc0
_v_add_lshl_u32 v16, v3, v10, 0x3                  // scaleToBpe: accumulate d0 lower and *= bpe into Cin addr
/* (d1,vc1,d0,vc0)=(3,0,1,0) */
_v_add_co_u32 v10, vcc, v0, 8                      // coord0.1: coord0 += d0*sg0*VW + vc0
_v_add_lshl_u32 v17, v3, v10, 0x3                  // scaleToBpe: accumulate d0 lower and *= bpe into Cin addr
/* (d1,vc1,d0,vc0)=(3,0,1,2) */
_v_add_co_u32 v10, vcc, v0, 10                     // coord0.1: coord0 += d0*sg0*VW + vc0
_v_add_lshl_u32 v18, v3, v10, 0x3                  // scaleToBpe: accumulate d0 lower and *= bpe into Cin addr
/* (d1,vc1,d0,vc0)=(3,0,2,0) */
_v_add_co_u32 v10, vcc, v0, 16                     // coord0.1: coord0 += d0*sg0*VW + vc0
	;; [unrolled: 3-line block ×5, first 2 shown]
_v_add_lshl_u32 v38, v3, v10, 0x3                  // scaleToBpe: accumulate d0 lower and *= bpe into Cin addr
v_accvgpr_read_b32 v[vgprValuC+12], acc48 // copy acc to vreg[96]
v_accvgpr_read_b32 v[vgprValuC+13], acc112 // copy acc to vreg[97]
v_accvgpr_read_b32 v[vgprValuC+14], acc49 // copy acc to vreg[98]
v_accvgpr_read_b32 v[vgprValuC+15], acc113 // copy acc to vreg[99]
v_accvgpr_read_b32 v[vgprValuC+20], acc50 // copy acc to vreg[100]
v_accvgpr_read_b32 v[vgprValuC+21], acc114 // copy acc to vreg[101]
v_accvgpr_read_b32 v[vgprValuC+22], acc51 // copy acc to vreg[102]
v_accvgpr_read_b32 v[vgprValuC+23], acc115 // copy acc to vreg[103]
v_accvgpr_read_b32 v[vgprValuC+24], acc52 // copy acc to vreg[104]
v_accvgpr_read_b32 v[vgprValuC+25], acc116 // copy acc to vreg[105]
v_accvgpr_read_b32 v[vgprValuC+26], acc53 // copy acc to vreg[106]
v_accvgpr_read_b32 v[vgprValuC+27], acc117 // copy acc to vreg[107]
v_accvgpr_read_b32 v[vgprValuC+28], acc54 // copy acc to vreg[108]
v_accvgpr_read_b32 v[vgprValuC+29], acc118 // copy acc to vreg[109]
v_accvgpr_read_b32 v[vgprValuC+30], acc55 // copy acc to vreg[110]
v_accvgpr_read_b32 v[vgprValuC+31], acc119 // copy acc to vreg[111]
v_accvgpr_read_b32 v[vgprValuC+32], acc56 // copy acc to vreg[112]
v_accvgpr_read_b32 v[vgprValuC+33], acc120 // copy acc to vreg[113]
v_accvgpr_read_b32 v[vgprValuC+34], acc57 // copy acc to vreg[114]
v_accvgpr_read_b32 v[vgprValuC+35], acc121 // copy acc to vreg[115]
v_accvgpr_read_b32 v[vgprValuC+44], acc58 // copy acc to vreg[116]
v_accvgpr_read_b32 v[vgprValuC+45], acc122 // copy acc to vreg[117]
v_accvgpr_read_b32 v[vgprValuC+46], acc59 // copy acc to vreg[118]
v_accvgpr_read_b32 v[vgprValuC+47], acc123 // copy acc to vreg[119]
v_accvgpr_read_b32 v[vgprValuC+48], acc60 // copy acc to vreg[120]
v_accvgpr_read_b32 v[vgprValuC+49], acc124 // copy acc to vreg[121]
v_accvgpr_read_b32 v[vgprValuC+50], acc61 // copy acc to vreg[122]
v_accvgpr_read_b32 v[vgprValuC+51], acc125 // copy acc to vreg[123]
v_accvgpr_read_b32 v[vgprValuC+52], acc62 // copy acc to vreg[124]
v_accvgpr_read_b32 v[vgprValuC+53], acc126 // copy acc to vreg[125]
v_accvgpr_read_b32 v[vgprValuC+54], acc63 // copy acc to vreg[126]
v_accvgpr_read_b32 v[vgprValuC+55], acc127 // copy acc to vreg[127]
s_nop 1                                            // 2 wait states required before reading vgpr

/* rC *= alpha batchElements=[(3, 0, 0, 0), (3, 0, 0, 2), (3, 1, 0, 0), (3, 1, 0, 2), (3, 2, 0, 0), (3, 2, 0, 2), (3, 3, 0, 0), (3, 3, 0, 2)] */
v_mov_b32 v39, v[vgprValuC+12]                     // store Cr
v_mul_f32 v[vgprValuC+12], s[sgprAlpha], v[vgprValuC+12] // *= alpha ( Cr = Ar * Cr)
_v_mac_f32 v[vgprValuC+12], -s[sgprAlpha+1], v[vgprValuC+13] // *= alpha ( Cr += -Ai * Ci )
v_mul_f32 v[vgprValuC+13], s[sgprAlpha], v[vgprValuC+13] // *= alpha ( Ci = Ar * Ci)
_v_mac_f32 v[vgprValuC+13], s[sgprAlpha+1], v39    // *= alpha ( Ci += Ai * Cr_backup )
v_mov_b32 v39, v[vgprValuC+14]                     // store Cr
v_mul_f32 v[vgprValuC+14], s[sgprAlpha], v[vgprValuC+14] // *= alpha ( Cr = Ar * Cr)
_v_mac_f32 v[vgprValuC+14], -s[sgprAlpha+1], v[vgprValuC+15] // *= alpha ( Cr += -Ai * Ci )
v_mul_f32 v[vgprValuC+15], s[sgprAlpha], v[vgprValuC+15] // *= alpha ( Ci = Ar * Ci)
_v_mac_f32 v[vgprValuC+15], s[sgprAlpha+1], v39    // *= alpha ( Ci += Ai * Cr_backup )
	;; [unrolled: 5-line block ×16, first 2 shown]

/* apply mask, calc new C and issue writes */

/* StoreRemap: shift coord1 address */
s_mul_i32 s56, s[sgprStrideD1J], 256               // scale StrideD *= numRows(32) * bpe
s_add_u32  s[sgprSrdD+0], s[sgprSrdD+0], s56       // incToNextRow: gra SRD += inc(lower)
s_addc_u32  s[sgprSrdD+1], s[sgprSrdD+1], 0        // incToNextRow: gra SRD += inc(upper)
v_mov_b32 v10, 32                                  // set shift rows
_v_add_u32 v5, v5, v10                             // shift storeRemap coord1
_ds_store_b128 v7, v[12:15], offset:0              // storeRemap lw
_ds_store_b128 v7, v[20:23], offset:16             // storeRemap lw
_ds_store_b128 v7, v[24:27], offset:64             // storeRemap lw
	;; [unrolled: 1-line block ×3, first 2 shown]
_ds_store_b128 v7, v[32:35], offset:128            // storeRemap lw
_ds_store_b128 v7, v[44:47], offset:144            // storeRemap lw
	;; [unrolled: 1-line block ×4, first 2 shown]

/* Handle local read and global write */
s_waitcnt lgkmcnt(0)                               // wait for LDS write
s_barrier //wait all lds write finished

_ds_load_b128 v[12:15], v8, offset:0               // storeRemap lr
_ds_load_b128 v[16:19], v8, offset:1056            // storeRemap lr
_ds_load_b128 v[20:23], v8, offset:2112            // storeRemap lr
	;; [unrolled: 1-line block ×7, first 2 shown]

s_waitcnt lgkmcnt(7)                               // wait for LDS read
_v_add_u32 v11, v5, 0                              // coord1 += nColPerLoad
_v_add_u32 v10, v4, 0                              // coord0 += element index of load vector
_v_add_u32 v9, v6, 0                               // offset coord1 += nColPerLoad
v_cmp_lt_u32 s[56:57], v10, s[sgprSizeI]           // coord0 < size0
v_cmp_lt_u32 s[58:59], v11, s[sgprSizeJ]           // coord1 < size1
s_and_b64 s[58:59], s[56:57], s[58:59]             // in0 && in1
v_mul_lo_u32 v9, v9, s[sgprStrideD1J]              // coord1 element offset =  coord1 * StrideD
_v_add_lshl_u32 v9, v9, v10, 0x3                   // scale to BPE
v_cndmask_b32 v9, -1, v9, s[58:59]                 // clip if OOB. offset
_buffer_store_b64 v[12:13], v9, s[sgprSrdD:sgprSrdD+3], 0, offen, offset:0 // store D
_v_add_u32 v11, v5, 0                              // coord1 += nColPerLoad
_v_add_u32 v10, v4, 1                              // coord0 += element index of load vector
_v_add_u32 v9, v6, 0                               // offset coord1 += nColPerLoad
v_cmp_lt_u32 s[56:57], v10, s[sgprSizeI]           // coord0 < size0
v_cmp_lt_u32 s[58:59], v11, s[sgprSizeJ]           // coord1 < size1
s_and_b64 s[58:59], s[56:57], s[58:59]             // in0 && in1
v_mul_lo_u32 v9, v9, s[sgprStrideD1J]              // coord1 element offset =  coord1 * StrideD
_v_add_lshl_u32 v9, v9, v10, 0x3                   // scale to BPE
v_cndmask_b32 v9, -1, v9, s[58:59]                 // clip if OOB. offset
_buffer_store_b64 v[14:15], v9, s[sgprSrdD:sgprSrdD+3], 0, offen, offset:0 // store D
s_waitcnt lgkmcnt(6)                               // wait for LDS read
_v_add_u32 v11, v5, 1                              // coord1 += nColPerLoad
_v_add_u32 v10, v4, 0                              // coord0 += element index of load vector
_v_add_u32 v9, v6, 1                               // offset coord1 += nColPerLoad
v_cmp_lt_u32 s[56:57], v10, s[sgprSizeI]           // coord0 < size0
v_cmp_lt_u32 s[58:59], v11, s[sgprSizeJ]           // coord1 < size1
s_and_b64 s[58:59], s[56:57], s[58:59]             // in0 && in1
v_mul_lo_u32 v9, v9, s[sgprStrideD1J]              // coord1 element offset =  coord1 * StrideD
_v_add_lshl_u32 v9, v9, v10, 0x3                   // scale to BPE
v_cndmask_b32 v9, -1, v9, s[58:59]                 // clip if OOB. offset
_buffer_store_b64 v[16:17], v9, s[sgprSrdD:sgprSrdD+3], 0, offen, offset:0 // store D
_v_add_u32 v11, v5, 1                              // coord1 += nColPerLoad
_v_add_u32 v10, v4, 1                              // coord0 += element index of load vector
_v_add_u32 v9, v6, 1                               // offset coord1 += nColPerLoad
v_cmp_lt_u32 s[56:57], v10, s[sgprSizeI]           // coord0 < size0
v_cmp_lt_u32 s[58:59], v11, s[sgprSizeJ]           // coord1 < size1
s_and_b64 s[58:59], s[56:57], s[58:59]             // in0 && in1
v_mul_lo_u32 v9, v9, s[sgprStrideD1J]              // coord1 element offset =  coord1 * StrideD
_v_add_lshl_u32 v9, v9, v10, 0x3                   // scale to BPE
v_cndmask_b32 v9, -1, v9, s[58:59]                 // clip if OOB. offset
_buffer_store_b64 v[18:19], v9, s[sgprSrdD:sgprSrdD+3], 0, offen, offset:0 // store D
	;; [unrolled: 21-line block ×8, first 2 shown]

s_barrier //wait all lds read finished
s_nop 0                                            // 1 wait state required when next inst writes vgprs held by previous dwordx4 store inst
s_branch label_GW_End_42                           // jump to end
GW_Beta_43:
s_and_b32 s56, 127, s[sgprSizeI]                   // s56 = s[sgprSizeI] % 128
s_add_u32 s57, -0x1, s[sgprNumWorkGroups0]         // 
s_cmp_ge_u32 s[sgprWorkGroup0], s57                // wg0 >= nwg0-1 ?
s_cselect_b32 s56, s56, 0                          // set rMT0
s_cmpk_gt_u32 s56, 0x0                             // rMT0 > 0
s_cbranch_scc1 GW_B1_E1_41                         // jump if edges required
s_and_b32 s56, 127, s[sgprSizeJ]                   // s56 = s[sgprSizeJ] % 128
s_add_u32 s57, -0x1, s[sgprNumWorkGroups1]         // 
s_cmp_ge_u32 s[sgprWorkGroup1], s57                // wg1 >= nwg1-1
s_cselect_b32 s56, s56, 0                          // set rMT1
s_cmpk_gt_u32 s56, 0x0                             // rMT1 > 0
s_cbranch_scc1 GW_B1_E1_41                         // jump if edges required
GW_B1_E0_38:

/* edge=0, allocate 2 sgpr. perBatchTmpS=2 perBatchMaskS=0 perElementMaskS=0 elementsPerBatch=8 */
/* optSingleColVgpr=1 optSharedColVgpr=0 optSGPRUsage=BufferLoad_Mask optSrdIncForRow=1 */

/******************************************/
/* Global Write Alpha Beta Batch #0 (d1,d0,vc1,vc0) = */
/*    (0,0,0,0:vw2); (0,0,0,2:vw2); (0,1,0,0:vw2); (0,1,0,2:vw2); (0,2,0,0:vw2); (0,2,0,2:vw2); (0,3,0,0:vw2); (0,3,0,2:vw2) */
/******************************************/

/* calc coords, apply mask, and issue loads (if necessary) */
/* (d1,vc1,d0,vc0)=(0,0,0,0) */
_v_add_lshl_u32 v12, v2, v0, 0x3                   // optSingleColVgpr scaleToBpe: sharedAddrVgpr <- cinRowPtr + coord0, scaled by BPE. BSHERE:coord0=0, coord0Vgpr=0
_buffer_load_b128 v[16:19], v12, s[sgprSrdC:sgprSrdC+3], 0, offen offset:0 // load C for beta calc
/* (d1,vc1,d0,vc0)=(0,0,0,2) */
_buffer_load_b128 v[24:27], v12, s[sgprSrdC:sgprSrdC+3], 0, offen offset:16 // load C for beta calc
/* (d1,vc1,d0,vc0)=(0,0,1,0) */
	;; [unrolled: 2-line block ×7, first 2 shown]
_buffer_load_b128 v[76:79], v12, s[sgprSrdC:sgprSrdC+3], 0, offen offset:208 // load C for beta calc
_v_add_lshl_u32 v9, v3, v0, 0x3                    // optSingleColVgpr scaleToBpe: sharedAddrVgpr <- cinRowPtr + coord0, scaled by BPE. BSHERE:coord0=0, coord0Vgpr=0
v_accvgpr_read_b32 v[vgprValuC+20], acc0 // copy acc to vreg[0]
v_accvgpr_read_b32 v[vgprValuC+21], acc64 // copy acc to vreg[1]
v_accvgpr_read_b32 v[vgprValuC+22], acc1 // copy acc to vreg[2]
v_accvgpr_read_b32 v[vgprValuC+23], acc65 // copy acc to vreg[3]
v_accvgpr_read_b32 v[vgprValuC+28], acc2 // copy acc to vreg[4]
v_accvgpr_read_b32 v[vgprValuC+29], acc66 // copy acc to vreg[5]
v_accvgpr_read_b32 v[vgprValuC+30], acc3 // copy acc to vreg[6]
v_accvgpr_read_b32 v[vgprValuC+31], acc67 // copy acc to vreg[7]
v_accvgpr_read_b32 v[vgprValuC+36], acc4 // copy acc to vreg[8]
v_accvgpr_read_b32 v[vgprValuC+37], acc68 // copy acc to vreg[9]
v_accvgpr_read_b32 v[vgprValuC+38], acc5 // copy acc to vreg[10]
v_accvgpr_read_b32 v[vgprValuC+39], acc69 // copy acc to vreg[11]
v_accvgpr_read_b32 v[vgprValuC+48], acc6 // copy acc to vreg[12]
v_accvgpr_read_b32 v[vgprValuC+49], acc70 // copy acc to vreg[13]
v_accvgpr_read_b32 v[vgprValuC+50], acc7 // copy acc to vreg[14]
v_accvgpr_read_b32 v[vgprValuC+51], acc71 // copy acc to vreg[15]
v_accvgpr_read_b32 v[vgprValuC+56], acc8 // copy acc to vreg[16]
v_accvgpr_read_b32 v[vgprValuC+57], acc72 // copy acc to vreg[17]
v_accvgpr_read_b32 v[vgprValuC+58], acc9 // copy acc to vreg[18]
v_accvgpr_read_b32 v[vgprValuC+59], acc73 // copy acc to vreg[19]
v_accvgpr_read_b32 v[vgprValuC+64], acc10 // copy acc to vreg[20]
v_accvgpr_read_b32 v[vgprValuC+65], acc74 // copy acc to vreg[21]
v_accvgpr_read_b32 v[vgprValuC+66], acc11 // copy acc to vreg[22]
v_accvgpr_read_b32 v[vgprValuC+67], acc75 // copy acc to vreg[23]
v_accvgpr_read_b32 v[vgprValuC+72], acc12 // copy acc to vreg[24]
v_accvgpr_read_b32 v[vgprValuC+73], acc76 // copy acc to vreg[25]
v_accvgpr_read_b32 v[vgprValuC+74], acc13 // copy acc to vreg[26]
v_accvgpr_read_b32 v[vgprValuC+75], acc77 // copy acc to vreg[27]
v_accvgpr_read_b32 v[vgprValuC+80], acc14 // copy acc to vreg[28]
v_accvgpr_read_b32 v[vgprValuC+81], acc78 // copy acc to vreg[29]
v_accvgpr_read_b32 v[vgprValuC+82], acc15 // copy acc to vreg[30]
v_accvgpr_read_b32 v[vgprValuC+83], acc79 // copy acc to vreg[31]
s_nop 1                                            // 2 wait states required before reading vgpr

/* rC *= alpha batchElements=[(0, 0, 0, 0), (0, 0, 0, 2), (0, 1, 0, 0), (0, 1, 0, 2), (0, 2, 0, 0), (0, 2, 0, 2), (0, 3, 0, 0), (0, 3, 0, 2)] */
v_mov_b32 v13, v[vgprValuC+20]                     // store Cr
v_mul_f32 v[vgprValuC+20], s[sgprAlpha], v[vgprValuC+20] // *= alpha ( Cr = Ar * Cr)
_v_mac_f32 v[vgprValuC+20], -s[sgprAlpha+1], v[vgprValuC+21] // *= alpha ( Cr += -Ai * Ci )
v_mul_f32 v[vgprValuC+21], s[sgprAlpha], v[vgprValuC+21] // *= alpha ( Ci = Ar * Ci)
_v_mac_f32 v[vgprValuC+21], s[sgprAlpha+1], v13    // *= alpha ( Ci += Ai * Cr_backup )
v_mov_b32 v13, v[vgprValuC+22]                     // store Cr
v_mul_f32 v[vgprValuC+22], s[sgprAlpha], v[vgprValuC+22] // *= alpha ( Cr = Ar * Cr)
_v_mac_f32 v[vgprValuC+22], -s[sgprAlpha+1], v[vgprValuC+23] // *= alpha ( Cr += -Ai * Ci )
v_mul_f32 v[vgprValuC+23], s[sgprAlpha], v[vgprValuC+23] // *= alpha ( Ci = Ar * Ci)
_v_mac_f32 v[vgprValuC+23], s[sgprAlpha+1], v13    // *= alpha ( Ci += Ai * Cr_backup )
	;; [unrolled: 5-line block ×16, first 2 shown]

/* apply mask, calc new C and issue writes */

s_waitcnt vmcnt(7)                                 // wait C (interleaved) 7 = 8 - 0 + 0 - 1
_v_mac_f32 v[vgprValuC+20], v16, s[sgprBeta]       // finalSum Cr += old Cr * Br
_v_mac_f32 v[vgprValuC+20], v17, -s[sgprBeta+1]    // finalSum Cr += old Ci * -Bi
_v_mac_f32 v[vgprValuC+21], v17, s[sgprBeta]       // finalSum Ci += old Ci * Br
_v_mac_f32 v[vgprValuC+21], v16, s[sgprBeta+1]     // finalSum Ci += old Cr * Bi
_v_mac_f32 v[vgprValuC+22], v18, s[sgprBeta]       // finalSum Cr += old Cr * Br
_v_mac_f32 v[vgprValuC+22], v19, -s[sgprBeta+1]    // finalSum Cr += old Ci * -Bi
_v_mac_f32 v[vgprValuC+23], v19, s[sgprBeta]       // finalSum Ci += old Ci * Br
_v_mac_f32 v[vgprValuC+23], v18, s[sgprBeta+1]     // finalSum Ci += old Cr * Bi
_ds_store_b128 v7, v[20:23], offset:0              // storeRemap lw

s_waitcnt vmcnt(6)                                 // wait C (interleaved) 6 = 8 - 1 + 0 - 1
_v_mac_f32 v[vgprValuC+28], v24, s[sgprBeta]       // finalSum Cr += old Cr * Br
_v_mac_f32 v[vgprValuC+28], v25, -s[sgprBeta+1]    // finalSum Cr += old Ci * -Bi
_v_mac_f32 v[vgprValuC+29], v25, s[sgprBeta]       // finalSum Ci += old Ci * Br
_v_mac_f32 v[vgprValuC+29], v24, s[sgprBeta+1]     // finalSum Ci += old Cr * Bi
_v_mac_f32 v[vgprValuC+30], v26, s[sgprBeta]       // finalSum Cr += old Cr * Br
_v_mac_f32 v[vgprValuC+30], v27, -s[sgprBeta+1]    // finalSum Cr += old Ci * -Bi
_v_mac_f32 v[vgprValuC+31], v27, s[sgprBeta]       // finalSum Ci += old Ci * Br
_v_mac_f32 v[vgprValuC+31], v26, s[sgprBeta+1]     // finalSum Ci += old Cr * Bi
_ds_store_b128 v7, v[28:31], offset:16             // storeRemap lw

s_waitcnt vmcnt(5)                                 // wait C (interleaved) 5 = 8 - 2 + 0 - 1
_v_mac_f32 v[vgprValuC+36], v32, s[sgprBeta]       // finalSum Cr += old Cr * Br
_v_mac_f32 v[vgprValuC+36], v33, -s[sgprBeta+1]    // finalSum Cr += old Ci * -Bi
_v_mac_f32 v[vgprValuC+37], v33, s[sgprBeta]       // finalSum Ci += old Ci * Br
_v_mac_f32 v[vgprValuC+37], v32, s[sgprBeta+1]     // finalSum Ci += old Cr * Bi
_v_mac_f32 v[vgprValuC+38], v34, s[sgprBeta]       // finalSum Cr += old Cr * Br
_v_mac_f32 v[vgprValuC+38], v35, -s[sgprBeta+1]    // finalSum Cr += old Ci * -Bi
_v_mac_f32 v[vgprValuC+39], v35, s[sgprBeta]       // finalSum Ci += old Ci * Br
_v_mac_f32 v[vgprValuC+39], v34, s[sgprBeta+1]     // finalSum Ci += old Cr * Bi
_ds_store_b128 v7, v[36:39], offset:64             // storeRemap lw
	;; [unrolled: 11-line block ×3, first 2 shown]

s_waitcnt vmcnt(3)                                 // wait C (interleaved) 3 = 8 - 4 + 0 - 1
_v_mac_f32 v[vgprValuC+56], v52, s[sgprBeta]       // finalSum Cr += old Cr * Br
_v_mac_f32 v[vgprValuC+56], v53, -s[sgprBeta+1]    // finalSum Cr += old Ci * -Bi
_v_mac_f32 v[vgprValuC+57], v53, s[sgprBeta]       // finalSum Ci += old Ci * Br
_v_mac_f32 v[vgprValuC+57], v52, s[sgprBeta+1]     // finalSum Ci += old Cr * Bi
_v_mac_f32 v[vgprValuC+58], v54, s[sgprBeta]       // finalSum Cr += old Cr * Br
_v_mac_f32 v[vgprValuC+58], v55, -s[sgprBeta+1]    // finalSum Cr += old Ci * -Bi
_v_mac_f32 v[vgprValuC+59], v55, s[sgprBeta]       // finalSum Ci += old Ci * Br
_v_mac_f32 v[vgprValuC+59], v54, s[sgprBeta+1]     // finalSum Ci += old Cr * Bi
_ds_store_b128 v7, v[56:59], offset:128            // storeRemap lw

s_waitcnt vmcnt(2)                                 // wait C (interleaved) 2 = 8 - 5 + 0 - 1
_v_mac_f32 v[vgprValuC+64], v60, s[sgprBeta]       // finalSum Cr += old Cr * Br
_v_mac_f32 v[vgprValuC+64], v61, -s[sgprBeta+1]    // finalSum Cr += old Ci * -Bi
_v_mac_f32 v[vgprValuC+65], v61, s[sgprBeta]       // finalSum Ci += old Ci * Br
_v_mac_f32 v[vgprValuC+65], v60, s[sgprBeta+1]     // finalSum Ci += old Cr * Bi
_v_mac_f32 v[vgprValuC+66], v62, s[sgprBeta]       // finalSum Cr += old Cr * Br
_v_mac_f32 v[vgprValuC+66], v63, -s[sgprBeta+1]    // finalSum Cr += old Ci * -Bi
_v_mac_f32 v[vgprValuC+67], v63, s[sgprBeta]       // finalSum Ci += old Ci * Br
_v_mac_f32 v[vgprValuC+67], v62, s[sgprBeta+1]     // finalSum Ci += old Cr * Bi
_ds_store_b128 v7, v[64:67], offset:144            // storeRemap lw
	;; [unrolled: 11-line block ×4, first 2 shown]

/* Handle local read and global write */
s_waitcnt lgkmcnt(0)                               // wait for LDS write
s_barrier //wait all lds write finished

_ds_load_b128 v[16:19], v8, offset:0               // storeRemap lr
_ds_load_b128 v[20:23], v8, offset:1056            // storeRemap lr
_ds_load_b128 v[24:27], v8, offset:2112            // storeRemap lr
	;; [unrolled: 1-line block ×7, first 2 shown]

v_mov_b32 v13, v6                                  // coord1
v_mul_lo_u32 v13, v13, s[sgprStrideD1J]            // coord1 offset =  coord1 * StrideD
_v_add_lshl_u32 v13, v13, v4, 0x3                  // global write D address
s_waitcnt lgkmcnt(7)                               // wait for LDS read
_buffer_store_b128 v[16:19], v13, s[sgprSrdD:sgprSrdD+3], 0, offen, offset:0 // store D
_v_add_u32 v13, v6, 1                              // coord1 += nColPerLoad
v_mul_lo_u32 v13, v13, s[sgprStrideD1J]            // coord1 offset =  coord1 * StrideD
_v_add_lshl_u32 v13, v13, v4, 0x3                  // global write D address
s_waitcnt lgkmcnt(6)                               // wait for LDS read
_buffer_store_b128 v[20:23], v13, s[sgprSrdD:sgprSrdD+3], 0, offen, offset:0 // store D
_v_add_u32 v13, v6, 2                              // coord1 += nColPerLoad
	;; [unrolled: 5-line block ×7, first 2 shown]
v_mul_lo_u32 v13, v13, s[sgprStrideD1J]            // coord1 offset =  coord1 * StrideD
_v_add_lshl_u32 v13, v13, v4, 0x3                  // global write D address
s_waitcnt lgkmcnt(0)                               // wait for LDS read
_buffer_store_b128 v[48:51], v13, s[sgprSrdD:sgprSrdD+3], 0, offen, offset:0 // store D

s_barrier //wait all lds read finished
s_nop 0                                            // 1 wait state required when next inst writes vgprs held by previous dwordx4 store inst
/* optSingleColVgpr=1 optSharedColVgpr=0 optSGPRUsage=BufferLoad_Mask optSrdIncForRow=1 */

/******************************************/
/* Global Write Alpha Beta Batch #1 (d1,d0,vc1,vc0) = */
/*    (1,0,0,0:vw2); (1,0,0,2:vw2); (1,1,0,0:vw2); (1,1,0,2:vw2); (1,2,0,0:vw2); (1,2,0,2:vw2); (1,3,0,0:vw2); (1,3,0,2:vw2) */
/******************************************/

/* calc coords, apply mask, and issue loads (if necessary) */
/* (d1,vc1,d0,vc0)=(1,0,0,0) */
s_mul_i32 s56, s[sgprStrideC1J], 256               // scale StrideC *= numRows(32) * bpe
s_add_u32  s[sgprSrdC+0], s[sgprSrdC+0], s56       // incToNextRow: gra SRD += inc(lower)
s_addc_u32  s[sgprSrdC+1], s[sgprSrdC+1], 0        // incToNextRow: gra SRD += inc(upper)
_buffer_load_b128 v[16:19], v12, s[sgprSrdC:sgprSrdC+3], 0, offen offset:0 // load C for beta calc
/* (d1,vc1,d0,vc0)=(1,0,0,2) */
_buffer_load_b128 v[24:27], v12, s[sgprSrdC:sgprSrdC+3], 0, offen offset:16 // load C for beta calc
/* (d1,vc1,d0,vc0)=(1,0,1,0) */
	;; [unrolled: 2-line block ×7, first 2 shown]
_buffer_load_b128 v[76:79], v12, s[sgprSrdC:sgprSrdC+3], 0, offen offset:208 // load C for beta calc
v_accvgpr_read_b32 v[vgprValuC+20], acc16 // copy acc to vreg[32]
v_accvgpr_read_b32 v[vgprValuC+21], acc80 // copy acc to vreg[33]
v_accvgpr_read_b32 v[vgprValuC+22], acc17 // copy acc to vreg[34]
v_accvgpr_read_b32 v[vgprValuC+23], acc81 // copy acc to vreg[35]
v_accvgpr_read_b32 v[vgprValuC+28], acc18 // copy acc to vreg[36]
v_accvgpr_read_b32 v[vgprValuC+29], acc82 // copy acc to vreg[37]
v_accvgpr_read_b32 v[vgprValuC+30], acc19 // copy acc to vreg[38]
v_accvgpr_read_b32 v[vgprValuC+31], acc83 // copy acc to vreg[39]
v_accvgpr_read_b32 v[vgprValuC+36], acc20 // copy acc to vreg[40]
v_accvgpr_read_b32 v[vgprValuC+37], acc84 // copy acc to vreg[41]
v_accvgpr_read_b32 v[vgprValuC+38], acc21 // copy acc to vreg[42]
v_accvgpr_read_b32 v[vgprValuC+39], acc85 // copy acc to vreg[43]
v_accvgpr_read_b32 v[vgprValuC+48], acc22 // copy acc to vreg[44]
v_accvgpr_read_b32 v[vgprValuC+49], acc86 // copy acc to vreg[45]
v_accvgpr_read_b32 v[vgprValuC+50], acc23 // copy acc to vreg[46]
v_accvgpr_read_b32 v[vgprValuC+51], acc87 // copy acc to vreg[47]
v_accvgpr_read_b32 v[vgprValuC+56], acc24 // copy acc to vreg[48]
v_accvgpr_read_b32 v[vgprValuC+57], acc88 // copy acc to vreg[49]
v_accvgpr_read_b32 v[vgprValuC+58], acc25 // copy acc to vreg[50]
v_accvgpr_read_b32 v[vgprValuC+59], acc89 // copy acc to vreg[51]
v_accvgpr_read_b32 v[vgprValuC+64], acc26 // copy acc to vreg[52]
v_accvgpr_read_b32 v[vgprValuC+65], acc90 // copy acc to vreg[53]
v_accvgpr_read_b32 v[vgprValuC+66], acc27 // copy acc to vreg[54]
v_accvgpr_read_b32 v[vgprValuC+67], acc91 // copy acc to vreg[55]
v_accvgpr_read_b32 v[vgprValuC+72], acc28 // copy acc to vreg[56]
v_accvgpr_read_b32 v[vgprValuC+73], acc92 // copy acc to vreg[57]
v_accvgpr_read_b32 v[vgprValuC+74], acc29 // copy acc to vreg[58]
v_accvgpr_read_b32 v[vgprValuC+75], acc93 // copy acc to vreg[59]
v_accvgpr_read_b32 v[vgprValuC+80], acc30 // copy acc to vreg[60]
v_accvgpr_read_b32 v[vgprValuC+81], acc94 // copy acc to vreg[61]
v_accvgpr_read_b32 v[vgprValuC+82], acc31 // copy acc to vreg[62]
v_accvgpr_read_b32 v[vgprValuC+83], acc95 // copy acc to vreg[63]
s_nop 1                                            // 2 wait states required before reading vgpr

/* rC *= alpha batchElements=[(1, 0, 0, 0), (1, 0, 0, 2), (1, 1, 0, 0), (1, 1, 0, 2), (1, 2, 0, 0), (1, 2, 0, 2), (1, 3, 0, 0), (1, 3, 0, 2)] */
v_mov_b32 v13, v[vgprValuC+20]                     // store Cr
v_mul_f32 v[vgprValuC+20], s[sgprAlpha], v[vgprValuC+20] // *= alpha ( Cr = Ar * Cr)
_v_mac_f32 v[vgprValuC+20], -s[sgprAlpha+1], v[vgprValuC+21] // *= alpha ( Cr += -Ai * Ci )
v_mul_f32 v[vgprValuC+21], s[sgprAlpha], v[vgprValuC+21] // *= alpha ( Ci = Ar * Ci)
_v_mac_f32 v[vgprValuC+21], s[sgprAlpha+1], v13    // *= alpha ( Ci += Ai * Cr_backup )
v_mov_b32 v13, v[vgprValuC+22]                     // store Cr
v_mul_f32 v[vgprValuC+22], s[sgprAlpha], v[vgprValuC+22] // *= alpha ( Cr = Ar * Cr)
_v_mac_f32 v[vgprValuC+22], -s[sgprAlpha+1], v[vgprValuC+23] // *= alpha ( Cr += -Ai * Ci )
v_mul_f32 v[vgprValuC+23], s[sgprAlpha], v[vgprValuC+23] // *= alpha ( Ci = Ar * Ci)
_v_mac_f32 v[vgprValuC+23], s[sgprAlpha+1], v13    // *= alpha ( Ci += Ai * Cr_backup )
	;; [unrolled: 5-line block ×16, first 2 shown]

/* apply mask, calc new C and issue writes */

/* StoreRemap: shift coord1 address */
s_mul_i32 s56, s[sgprStrideD1J], 256               // scale StrideD *= numRows(32) * bpe
s_add_u32  s[sgprSrdD+0], s[sgprSrdD+0], s56       // incToNextRow: gra SRD += inc(lower)
s_addc_u32  s[sgprSrdD+1], s[sgprSrdD+1], 0        // incToNextRow: gra SRD += inc(upper)
v_mov_b32 v10, 32                                  // set shift rows
_v_add_u32 v5, v5, v10                             // shift storeRemap coord1

s_waitcnt vmcnt(7)                                 // wait C (interleaved) 7 = 8 - 0 + 0 - 1
_v_mac_f32 v[vgprValuC+20], v16, s[sgprBeta]       // finalSum Cr += old Cr * Br
_v_mac_f32 v[vgprValuC+20], v17, -s[sgprBeta+1]    // finalSum Cr += old Ci * -Bi
_v_mac_f32 v[vgprValuC+21], v17, s[sgprBeta]       // finalSum Ci += old Ci * Br
_v_mac_f32 v[vgprValuC+21], v16, s[sgprBeta+1]     // finalSum Ci += old Cr * Bi
_v_mac_f32 v[vgprValuC+22], v18, s[sgprBeta]       // finalSum Cr += old Cr * Br
_v_mac_f32 v[vgprValuC+22], v19, -s[sgprBeta+1]    // finalSum Cr += old Ci * -Bi
_v_mac_f32 v[vgprValuC+23], v19, s[sgprBeta]       // finalSum Ci += old Ci * Br
_v_mac_f32 v[vgprValuC+23], v18, s[sgprBeta+1]     // finalSum Ci += old Cr * Bi
_ds_store_b128 v7, v[20:23], offset:0              // storeRemap lw

s_waitcnt vmcnt(6)                                 // wait C (interleaved) 6 = 8 - 1 + 0 - 1
_v_mac_f32 v[vgprValuC+28], v24, s[sgprBeta]       // finalSum Cr += old Cr * Br
_v_mac_f32 v[vgprValuC+28], v25, -s[sgprBeta+1]    // finalSum Cr += old Ci * -Bi
_v_mac_f32 v[vgprValuC+29], v25, s[sgprBeta]       // finalSum Ci += old Ci * Br
_v_mac_f32 v[vgprValuC+29], v24, s[sgprBeta+1]     // finalSum Ci += old Cr * Bi
_v_mac_f32 v[vgprValuC+30], v26, s[sgprBeta]       // finalSum Cr += old Cr * Br
_v_mac_f32 v[vgprValuC+30], v27, -s[sgprBeta+1]    // finalSum Cr += old Ci * -Bi
_v_mac_f32 v[vgprValuC+31], v27, s[sgprBeta]       // finalSum Ci += old Ci * Br
_v_mac_f32 v[vgprValuC+31], v26, s[sgprBeta+1]     // finalSum Ci += old Cr * Bi
_ds_store_b128 v7, v[28:31], offset:16             // storeRemap lw

s_waitcnt vmcnt(5)                                 // wait C (interleaved) 5 = 8 - 2 + 0 - 1
_v_mac_f32 v[vgprValuC+36], v32, s[sgprBeta]       // finalSum Cr += old Cr * Br
_v_mac_f32 v[vgprValuC+36], v33, -s[sgprBeta+1]    // finalSum Cr += old Ci * -Bi
_v_mac_f32 v[vgprValuC+37], v33, s[sgprBeta]       // finalSum Ci += old Ci * Br
_v_mac_f32 v[vgprValuC+37], v32, s[sgprBeta+1]     // finalSum Ci += old Cr * Bi
_v_mac_f32 v[vgprValuC+38], v34, s[sgprBeta]       // finalSum Cr += old Cr * Br
_v_mac_f32 v[vgprValuC+38], v35, -s[sgprBeta+1]    // finalSum Cr += old Ci * -Bi
_v_mac_f32 v[vgprValuC+39], v35, s[sgprBeta]       // finalSum Ci += old Ci * Br
_v_mac_f32 v[vgprValuC+39], v34, s[sgprBeta+1]     // finalSum Ci += old Cr * Bi
_ds_store_b128 v7, v[36:39], offset:64             // storeRemap lw
	;; [unrolled: 11-line block ×3, first 2 shown]

s_waitcnt vmcnt(3)                                 // wait C (interleaved) 3 = 8 - 4 + 0 - 1
_v_mac_f32 v[vgprValuC+56], v52, s[sgprBeta]       // finalSum Cr += old Cr * Br
_v_mac_f32 v[vgprValuC+56], v53, -s[sgprBeta+1]    // finalSum Cr += old Ci * -Bi
_v_mac_f32 v[vgprValuC+57], v53, s[sgprBeta]       // finalSum Ci += old Ci * Br
_v_mac_f32 v[vgprValuC+57], v52, s[sgprBeta+1]     // finalSum Ci += old Cr * Bi
_v_mac_f32 v[vgprValuC+58], v54, s[sgprBeta]       // finalSum Cr += old Cr * Br
_v_mac_f32 v[vgprValuC+58], v55, -s[sgprBeta+1]    // finalSum Cr += old Ci * -Bi
_v_mac_f32 v[vgprValuC+59], v55, s[sgprBeta]       // finalSum Ci += old Ci * Br
_v_mac_f32 v[vgprValuC+59], v54, s[sgprBeta+1]     // finalSum Ci += old Cr * Bi
_ds_store_b128 v7, v[56:59], offset:128            // storeRemap lw

s_waitcnt vmcnt(2)                                 // wait C (interleaved) 2 = 8 - 5 + 0 - 1
_v_mac_f32 v[vgprValuC+64], v60, s[sgprBeta]       // finalSum Cr += old Cr * Br
_v_mac_f32 v[vgprValuC+64], v61, -s[sgprBeta+1]    // finalSum Cr += old Ci * -Bi
_v_mac_f32 v[vgprValuC+65], v61, s[sgprBeta]       // finalSum Ci += old Ci * Br
_v_mac_f32 v[vgprValuC+65], v60, s[sgprBeta+1]     // finalSum Ci += old Cr * Bi
_v_mac_f32 v[vgprValuC+66], v62, s[sgprBeta]       // finalSum Cr += old Cr * Br
_v_mac_f32 v[vgprValuC+66], v63, -s[sgprBeta+1]    // finalSum Cr += old Ci * -Bi
_v_mac_f32 v[vgprValuC+67], v63, s[sgprBeta]       // finalSum Ci += old Ci * Br
_v_mac_f32 v[vgprValuC+67], v62, s[sgprBeta+1]     // finalSum Ci += old Cr * Bi
_ds_store_b128 v7, v[64:67], offset:144            // storeRemap lw
	;; [unrolled: 11-line block ×4, first 2 shown]

/* Handle local read and global write */
s_waitcnt lgkmcnt(0)                               // wait for LDS write
s_barrier //wait all lds write finished

_ds_load_b128 v[16:19], v8, offset:0               // storeRemap lr
_ds_load_b128 v[20:23], v8, offset:1056            // storeRemap lr
_ds_load_b128 v[24:27], v8, offset:2112            // storeRemap lr
_ds_load_b128 v[28:31], v8, offset:3168            // storeRemap lr
_ds_load_b128 v[32:35], v8, offset:4224            // storeRemap lr
_ds_load_b128 v[36:39], v8, offset:5280            // storeRemap lr
_ds_load_b128 v[44:47], v8, offset:6336            // storeRemap lr
_ds_load_b128 v[48:51], v8, offset:7392            // storeRemap lr

v_mov_b32 v13, v6                                  // coord1
v_mul_lo_u32 v13, v13, s[sgprStrideD1J]            // coord1 offset =  coord1 * StrideD
_v_add_lshl_u32 v13, v13, v4, 0x3                  // global write D address
s_waitcnt lgkmcnt(7)                               // wait for LDS read
_buffer_store_b128 v[16:19], v13, s[sgprSrdD:sgprSrdD+3], 0, offen, offset:0 // store D
_v_add_u32 v13, v6, 1                              // coord1 += nColPerLoad
v_mul_lo_u32 v13, v13, s[sgprStrideD1J]            // coord1 offset =  coord1 * StrideD
_v_add_lshl_u32 v13, v13, v4, 0x3                  // global write D address
s_waitcnt lgkmcnt(6)                               // wait for LDS read
_buffer_store_b128 v[20:23], v13, s[sgprSrdD:sgprSrdD+3], 0, offen, offset:0 // store D
_v_add_u32 v13, v6, 2                              // coord1 += nColPerLoad
	;; [unrolled: 5-line block ×7, first 2 shown]
v_mul_lo_u32 v13, v13, s[sgprStrideD1J]            // coord1 offset =  coord1 * StrideD
_v_add_lshl_u32 v13, v13, v4, 0x3                  // global write D address
s_waitcnt lgkmcnt(0)                               // wait for LDS read
_buffer_store_b128 v[48:51], v13, s[sgprSrdD:sgprSrdD+3], 0, offen, offset:0 // store D

s_barrier //wait all lds read finished
s_nop 0                                            // 1 wait state required when next inst writes vgprs held by previous dwordx4 store inst
/* optSingleColVgpr=1 optSharedColVgpr=0 optSGPRUsage=BufferLoad_Mask optSrdIncForRow=1 */

/******************************************/
/* Global Write Alpha Beta Batch #2 (d1,d0,vc1,vc0) = */
/*    (2,0,0,0:vw2); (2,0,0,2:vw2); (2,1,0,0:vw2); (2,1,0,2:vw2); (2,2,0,0:vw2); (2,2,0,2:vw2); (2,3,0,0:vw2); (2,3,0,2:vw2) */
/******************************************/

/* calc coords, apply mask, and issue loads (if necessary) */
/* (d1,vc1,d0,vc0)=(2,0,0,0) */
s_mul_i32 s56, s[sgprStrideC1J], 256               // scale StrideC *= numRows(32) * bpe
s_add_u32  s[sgprSrdC+0], s[sgprSrdC+0], s56       // incToNextRow: gra SRD += inc(lower)
s_addc_u32  s[sgprSrdC+1], s[sgprSrdC+1], 0        // incToNextRow: gra SRD += inc(upper)
_buffer_load_b128 v[16:19], v12, s[sgprSrdC:sgprSrdC+3], 0, offen offset:0 // load C for beta calc
/* (d1,vc1,d0,vc0)=(2,0,0,2) */
_buffer_load_b128 v[24:27], v12, s[sgprSrdC:sgprSrdC+3], 0, offen offset:16 // load C for beta calc
/* (d1,vc1,d0,vc0)=(2,0,1,0) */
	;; [unrolled: 2-line block ×7, first 2 shown]
_buffer_load_b128 v[76:79], v12, s[sgprSrdC:sgprSrdC+3], 0, offen offset:208 // load C for beta calc
v_accvgpr_read_b32 v[vgprValuC+20], acc32 // copy acc to vreg[64]
v_accvgpr_read_b32 v[vgprValuC+21], acc96 // copy acc to vreg[65]
v_accvgpr_read_b32 v[vgprValuC+22], acc33 // copy acc to vreg[66]
v_accvgpr_read_b32 v[vgprValuC+23], acc97 // copy acc to vreg[67]
v_accvgpr_read_b32 v[vgprValuC+28], acc34 // copy acc to vreg[68]
v_accvgpr_read_b32 v[vgprValuC+29], acc98 // copy acc to vreg[69]
v_accvgpr_read_b32 v[vgprValuC+30], acc35 // copy acc to vreg[70]
v_accvgpr_read_b32 v[vgprValuC+31], acc99 // copy acc to vreg[71]
v_accvgpr_read_b32 v[vgprValuC+36], acc36 // copy acc to vreg[72]
v_accvgpr_read_b32 v[vgprValuC+37], acc100 // copy acc to vreg[73]
v_accvgpr_read_b32 v[vgprValuC+38], acc37 // copy acc to vreg[74]
v_accvgpr_read_b32 v[vgprValuC+39], acc101 // copy acc to vreg[75]
v_accvgpr_read_b32 v[vgprValuC+48], acc38 // copy acc to vreg[76]
v_accvgpr_read_b32 v[vgprValuC+49], acc102 // copy acc to vreg[77]
v_accvgpr_read_b32 v[vgprValuC+50], acc39 // copy acc to vreg[78]
v_accvgpr_read_b32 v[vgprValuC+51], acc103 // copy acc to vreg[79]
v_accvgpr_read_b32 v[vgprValuC+56], acc40 // copy acc to vreg[80]
v_accvgpr_read_b32 v[vgprValuC+57], acc104 // copy acc to vreg[81]
v_accvgpr_read_b32 v[vgprValuC+58], acc41 // copy acc to vreg[82]
v_accvgpr_read_b32 v[vgprValuC+59], acc105 // copy acc to vreg[83]
v_accvgpr_read_b32 v[vgprValuC+64], acc42 // copy acc to vreg[84]
v_accvgpr_read_b32 v[vgprValuC+65], acc106 // copy acc to vreg[85]
v_accvgpr_read_b32 v[vgprValuC+66], acc43 // copy acc to vreg[86]
v_accvgpr_read_b32 v[vgprValuC+67], acc107 // copy acc to vreg[87]
v_accvgpr_read_b32 v[vgprValuC+72], acc44 // copy acc to vreg[88]
v_accvgpr_read_b32 v[vgprValuC+73], acc108 // copy acc to vreg[89]
v_accvgpr_read_b32 v[vgprValuC+74], acc45 // copy acc to vreg[90]
v_accvgpr_read_b32 v[vgprValuC+75], acc109 // copy acc to vreg[91]
v_accvgpr_read_b32 v[vgprValuC+80], acc46 // copy acc to vreg[92]
v_accvgpr_read_b32 v[vgprValuC+81], acc110 // copy acc to vreg[93]
v_accvgpr_read_b32 v[vgprValuC+82], acc47 // copy acc to vreg[94]
v_accvgpr_read_b32 v[vgprValuC+83], acc111 // copy acc to vreg[95]
s_nop 1                                            // 2 wait states required before reading vgpr

/* rC *= alpha batchElements=[(2, 0, 0, 0), (2, 0, 0, 2), (2, 1, 0, 0), (2, 1, 0, 2), (2, 2, 0, 0), (2, 2, 0, 2), (2, 3, 0, 0), (2, 3, 0, 2)] */
v_mov_b32 v13, v[vgprValuC+20]                     // store Cr
v_mul_f32 v[vgprValuC+20], s[sgprAlpha], v[vgprValuC+20] // *= alpha ( Cr = Ar * Cr)
_v_mac_f32 v[vgprValuC+20], -s[sgprAlpha+1], v[vgprValuC+21] // *= alpha ( Cr += -Ai * Ci )
v_mul_f32 v[vgprValuC+21], s[sgprAlpha], v[vgprValuC+21] // *= alpha ( Ci = Ar * Ci)
_v_mac_f32 v[vgprValuC+21], s[sgprAlpha+1], v13    // *= alpha ( Ci += Ai * Cr_backup )
v_mov_b32 v13, v[vgprValuC+22]                     // store Cr
v_mul_f32 v[vgprValuC+22], s[sgprAlpha], v[vgprValuC+22] // *= alpha ( Cr = Ar * Cr)
_v_mac_f32 v[vgprValuC+22], -s[sgprAlpha+1], v[vgprValuC+23] // *= alpha ( Cr += -Ai * Ci )
v_mul_f32 v[vgprValuC+23], s[sgprAlpha], v[vgprValuC+23] // *= alpha ( Ci = Ar * Ci)
_v_mac_f32 v[vgprValuC+23], s[sgprAlpha+1], v13    // *= alpha ( Ci += Ai * Cr_backup )
	;; [unrolled: 5-line block ×16, first 2 shown]

/* apply mask, calc new C and issue writes */

/* StoreRemap: shift coord1 address */
s_mul_i32 s56, s[sgprStrideD1J], 256               // scale StrideD *= numRows(32) * bpe
s_add_u32  s[sgprSrdD+0], s[sgprSrdD+0], s56       // incToNextRow: gra SRD += inc(lower)
s_addc_u32  s[sgprSrdD+1], s[sgprSrdD+1], 0        // incToNextRow: gra SRD += inc(upper)
v_mov_b32 v10, 32                                  // set shift rows
_v_add_u32 v5, v5, v10                             // shift storeRemap coord1

s_waitcnt vmcnt(7)                                 // wait C (interleaved) 7 = 8 - 0 + 0 - 1
_v_mac_f32 v[vgprValuC+20], v16, s[sgprBeta]       // finalSum Cr += old Cr * Br
_v_mac_f32 v[vgprValuC+20], v17, -s[sgprBeta+1]    // finalSum Cr += old Ci * -Bi
_v_mac_f32 v[vgprValuC+21], v17, s[sgprBeta]       // finalSum Ci += old Ci * Br
_v_mac_f32 v[vgprValuC+21], v16, s[sgprBeta+1]     // finalSum Ci += old Cr * Bi
_v_mac_f32 v[vgprValuC+22], v18, s[sgprBeta]       // finalSum Cr += old Cr * Br
_v_mac_f32 v[vgprValuC+22], v19, -s[sgprBeta+1]    // finalSum Cr += old Ci * -Bi
_v_mac_f32 v[vgprValuC+23], v19, s[sgprBeta]       // finalSum Ci += old Ci * Br
_v_mac_f32 v[vgprValuC+23], v18, s[sgprBeta+1]     // finalSum Ci += old Cr * Bi
_ds_store_b128 v7, v[20:23], offset:0              // storeRemap lw

s_waitcnt vmcnt(6)                                 // wait C (interleaved) 6 = 8 - 1 + 0 - 1
_v_mac_f32 v[vgprValuC+28], v24, s[sgprBeta]       // finalSum Cr += old Cr * Br
_v_mac_f32 v[vgprValuC+28], v25, -s[sgprBeta+1]    // finalSum Cr += old Ci * -Bi
_v_mac_f32 v[vgprValuC+29], v25, s[sgprBeta]       // finalSum Ci += old Ci * Br
_v_mac_f32 v[vgprValuC+29], v24, s[sgprBeta+1]     // finalSum Ci += old Cr * Bi
_v_mac_f32 v[vgprValuC+30], v26, s[sgprBeta]       // finalSum Cr += old Cr * Br
_v_mac_f32 v[vgprValuC+30], v27, -s[sgprBeta+1]    // finalSum Cr += old Ci * -Bi
_v_mac_f32 v[vgprValuC+31], v27, s[sgprBeta]       // finalSum Ci += old Ci * Br
_v_mac_f32 v[vgprValuC+31], v26, s[sgprBeta+1]     // finalSum Ci += old Cr * Bi
_ds_store_b128 v7, v[28:31], offset:16             // storeRemap lw

s_waitcnt vmcnt(5)                                 // wait C (interleaved) 5 = 8 - 2 + 0 - 1
_v_mac_f32 v[vgprValuC+36], v32, s[sgprBeta]       // finalSum Cr += old Cr * Br
_v_mac_f32 v[vgprValuC+36], v33, -s[sgprBeta+1]    // finalSum Cr += old Ci * -Bi
_v_mac_f32 v[vgprValuC+37], v33, s[sgprBeta]       // finalSum Ci += old Ci * Br
_v_mac_f32 v[vgprValuC+37], v32, s[sgprBeta+1]     // finalSum Ci += old Cr * Bi
_v_mac_f32 v[vgprValuC+38], v34, s[sgprBeta]       // finalSum Cr += old Cr * Br
_v_mac_f32 v[vgprValuC+38], v35, -s[sgprBeta+1]    // finalSum Cr += old Ci * -Bi
_v_mac_f32 v[vgprValuC+39], v35, s[sgprBeta]       // finalSum Ci += old Ci * Br
_v_mac_f32 v[vgprValuC+39], v34, s[sgprBeta+1]     // finalSum Ci += old Cr * Bi
_ds_store_b128 v7, v[36:39], offset:64             // storeRemap lw
	;; [unrolled: 11-line block ×3, first 2 shown]

s_waitcnt vmcnt(3)                                 // wait C (interleaved) 3 = 8 - 4 + 0 - 1
_v_mac_f32 v[vgprValuC+56], v52, s[sgprBeta]       // finalSum Cr += old Cr * Br
_v_mac_f32 v[vgprValuC+56], v53, -s[sgprBeta+1]    // finalSum Cr += old Ci * -Bi
_v_mac_f32 v[vgprValuC+57], v53, s[sgprBeta]       // finalSum Ci += old Ci * Br
_v_mac_f32 v[vgprValuC+57], v52, s[sgprBeta+1]     // finalSum Ci += old Cr * Bi
_v_mac_f32 v[vgprValuC+58], v54, s[sgprBeta]       // finalSum Cr += old Cr * Br
_v_mac_f32 v[vgprValuC+58], v55, -s[sgprBeta+1]    // finalSum Cr += old Ci * -Bi
_v_mac_f32 v[vgprValuC+59], v55, s[sgprBeta]       // finalSum Ci += old Ci * Br
_v_mac_f32 v[vgprValuC+59], v54, s[sgprBeta+1]     // finalSum Ci += old Cr * Bi
_ds_store_b128 v7, v[56:59], offset:128            // storeRemap lw

s_waitcnt vmcnt(2)                                 // wait C (interleaved) 2 = 8 - 5 + 0 - 1
_v_mac_f32 v[vgprValuC+64], v60, s[sgprBeta]       // finalSum Cr += old Cr * Br
_v_mac_f32 v[vgprValuC+64], v61, -s[sgprBeta+1]    // finalSum Cr += old Ci * -Bi
_v_mac_f32 v[vgprValuC+65], v61, s[sgprBeta]       // finalSum Ci += old Ci * Br
_v_mac_f32 v[vgprValuC+65], v60, s[sgprBeta+1]     // finalSum Ci += old Cr * Bi
_v_mac_f32 v[vgprValuC+66], v62, s[sgprBeta]       // finalSum Cr += old Cr * Br
_v_mac_f32 v[vgprValuC+66], v63, -s[sgprBeta+1]    // finalSum Cr += old Ci * -Bi
_v_mac_f32 v[vgprValuC+67], v63, s[sgprBeta]       // finalSum Ci += old Ci * Br
_v_mac_f32 v[vgprValuC+67], v62, s[sgprBeta+1]     // finalSum Ci += old Cr * Bi
_ds_store_b128 v7, v[64:67], offset:144            // storeRemap lw
	;; [unrolled: 11-line block ×4, first 2 shown]

/* Handle local read and global write */
s_waitcnt lgkmcnt(0)                               // wait for LDS write
s_barrier //wait all lds write finished

_ds_load_b128 v[16:19], v8, offset:0               // storeRemap lr
_ds_load_b128 v[20:23], v8, offset:1056            // storeRemap lr
_ds_load_b128 v[24:27], v8, offset:2112            // storeRemap lr
	;; [unrolled: 1-line block ×7, first 2 shown]

v_mov_b32 v13, v6                                  // coord1
v_mul_lo_u32 v13, v13, s[sgprStrideD1J]            // coord1 offset =  coord1 * StrideD
_v_add_lshl_u32 v13, v13, v4, 0x3                  // global write D address
s_waitcnt lgkmcnt(7)                               // wait for LDS read
_buffer_store_b128 v[16:19], v13, s[sgprSrdD:sgprSrdD+3], 0, offen, offset:0 // store D
_v_add_u32 v13, v6, 1                              // coord1 += nColPerLoad
v_mul_lo_u32 v13, v13, s[sgprStrideD1J]            // coord1 offset =  coord1 * StrideD
_v_add_lshl_u32 v13, v13, v4, 0x3                  // global write D address
s_waitcnt lgkmcnt(6)                               // wait for LDS read
_buffer_store_b128 v[20:23], v13, s[sgprSrdD:sgprSrdD+3], 0, offen, offset:0 // store D
_v_add_u32 v13, v6, 2                              // coord1 += nColPerLoad
	;; [unrolled: 5-line block ×7, first 2 shown]
v_mul_lo_u32 v13, v13, s[sgprStrideD1J]            // coord1 offset =  coord1 * StrideD
_v_add_lshl_u32 v13, v13, v4, 0x3                  // global write D address
s_waitcnt lgkmcnt(0)                               // wait for LDS read
_buffer_store_b128 v[48:51], v13, s[sgprSrdD:sgprSrdD+3], 0, offen, offset:0 // store D

s_barrier //wait all lds read finished
s_nop 0                                            // 1 wait state required when next inst writes vgprs held by previous dwordx4 store inst
/* optSingleColVgpr=1 optSharedColVgpr=0 optSGPRUsage=BufferLoad_Mask optSrdIncForRow=1 */

/******************************************/
/* Global Write Alpha Beta Batch #3 (d1,d0,vc1,vc0) = */
/*    (3,0,0,0:vw2); (3,0,0,2:vw2); (3,1,0,0:vw2); (3,1,0,2:vw2); (3,2,0,0:vw2); (3,2,0,2:vw2); (3,3,0,0:vw2); (3,3,0,2:vw2) */
/******************************************/

/* calc coords, apply mask, and issue loads (if necessary) */
/* (d1,vc1,d0,vc0)=(3,0,0,0) */
s_mul_i32 s56, s[sgprStrideC1J], 256               // scale StrideC *= numRows(32) * bpe
s_add_u32  s[sgprSrdC+0], s[sgprSrdC+0], s56       // incToNextRow: gra SRD += inc(lower)
s_addc_u32  s[sgprSrdC+1], s[sgprSrdC+1], 0        // incToNextRow: gra SRD += inc(upper)
_buffer_load_b128 v[16:19], v12, s[sgprSrdC:sgprSrdC+3], 0, offen offset:0 // load C for beta calc
/* (d1,vc1,d0,vc0)=(3,0,0,2) */
_buffer_load_b128 v[24:27], v12, s[sgprSrdC:sgprSrdC+3], 0, offen offset:16 // load C for beta calc
/* (d1,vc1,d0,vc0)=(3,0,1,0) */
	;; [unrolled: 2-line block ×7, first 2 shown]
_buffer_load_b128 v[76:79], v12, s[sgprSrdC:sgprSrdC+3], 0, offen offset:208 // load C for beta calc
v_accvgpr_read_b32 v[vgprValuC+20], acc48 // copy acc to vreg[96]
v_accvgpr_read_b32 v[vgprValuC+21], acc112 // copy acc to vreg[97]
v_accvgpr_read_b32 v[vgprValuC+22], acc49 // copy acc to vreg[98]
v_accvgpr_read_b32 v[vgprValuC+23], acc113 // copy acc to vreg[99]
v_accvgpr_read_b32 v[vgprValuC+28], acc50 // copy acc to vreg[100]
v_accvgpr_read_b32 v[vgprValuC+29], acc114 // copy acc to vreg[101]
v_accvgpr_read_b32 v[vgprValuC+30], acc51 // copy acc to vreg[102]
v_accvgpr_read_b32 v[vgprValuC+31], acc115 // copy acc to vreg[103]
v_accvgpr_read_b32 v[vgprValuC+36], acc52 // copy acc to vreg[104]
v_accvgpr_read_b32 v[vgprValuC+37], acc116 // copy acc to vreg[105]
v_accvgpr_read_b32 v[vgprValuC+38], acc53 // copy acc to vreg[106]
v_accvgpr_read_b32 v[vgprValuC+39], acc117 // copy acc to vreg[107]
v_accvgpr_read_b32 v[vgprValuC+48], acc54 // copy acc to vreg[108]
v_accvgpr_read_b32 v[vgprValuC+49], acc118 // copy acc to vreg[109]
v_accvgpr_read_b32 v[vgprValuC+50], acc55 // copy acc to vreg[110]
v_accvgpr_read_b32 v[vgprValuC+51], acc119 // copy acc to vreg[111]
v_accvgpr_read_b32 v[vgprValuC+56], acc56 // copy acc to vreg[112]
v_accvgpr_read_b32 v[vgprValuC+57], acc120 // copy acc to vreg[113]
v_accvgpr_read_b32 v[vgprValuC+58], acc57 // copy acc to vreg[114]
v_accvgpr_read_b32 v[vgprValuC+59], acc121 // copy acc to vreg[115]
v_accvgpr_read_b32 v[vgprValuC+64], acc58 // copy acc to vreg[116]
v_accvgpr_read_b32 v[vgprValuC+65], acc122 // copy acc to vreg[117]
v_accvgpr_read_b32 v[vgprValuC+66], acc59 // copy acc to vreg[118]
v_accvgpr_read_b32 v[vgprValuC+67], acc123 // copy acc to vreg[119]
v_accvgpr_read_b32 v[vgprValuC+72], acc60 // copy acc to vreg[120]
v_accvgpr_read_b32 v[vgprValuC+73], acc124 // copy acc to vreg[121]
v_accvgpr_read_b32 v[vgprValuC+74], acc61 // copy acc to vreg[122]
v_accvgpr_read_b32 v[vgprValuC+75], acc125 // copy acc to vreg[123]
v_accvgpr_read_b32 v[vgprValuC+80], acc62 // copy acc to vreg[124]
v_accvgpr_read_b32 v[vgprValuC+81], acc126 // copy acc to vreg[125]
v_accvgpr_read_b32 v[vgprValuC+82], acc63 // copy acc to vreg[126]
v_accvgpr_read_b32 v[vgprValuC+83], acc127 // copy acc to vreg[127]
s_nop 1                                            // 2 wait states required before reading vgpr

/* rC *= alpha batchElements=[(3, 0, 0, 0), (3, 0, 0, 2), (3, 1, 0, 0), (3, 1, 0, 2), (3, 2, 0, 0), (3, 2, 0, 2), (3, 3, 0, 0), (3, 3, 0, 2)] */
v_mov_b32 v13, v[vgprValuC+20]                     // store Cr
v_mul_f32 v[vgprValuC+20], s[sgprAlpha], v[vgprValuC+20] // *= alpha ( Cr = Ar * Cr)
_v_mac_f32 v[vgprValuC+20], -s[sgprAlpha+1], v[vgprValuC+21] // *= alpha ( Cr += -Ai * Ci )
v_mul_f32 v[vgprValuC+21], s[sgprAlpha], v[vgprValuC+21] // *= alpha ( Ci = Ar * Ci)
_v_mac_f32 v[vgprValuC+21], s[sgprAlpha+1], v13    // *= alpha ( Ci += Ai * Cr_backup )
v_mov_b32 v13, v[vgprValuC+22]                     // store Cr
v_mul_f32 v[vgprValuC+22], s[sgprAlpha], v[vgprValuC+22] // *= alpha ( Cr = Ar * Cr)
_v_mac_f32 v[vgprValuC+22], -s[sgprAlpha+1], v[vgprValuC+23] // *= alpha ( Cr += -Ai * Ci )
v_mul_f32 v[vgprValuC+23], s[sgprAlpha], v[vgprValuC+23] // *= alpha ( Ci = Ar * Ci)
_v_mac_f32 v[vgprValuC+23], s[sgprAlpha+1], v13    // *= alpha ( Ci += Ai * Cr_backup )
	;; [unrolled: 5-line block ×16, first 2 shown]

/* apply mask, calc new C and issue writes */

/* StoreRemap: shift coord1 address */
s_mul_i32 s56, s[sgprStrideD1J], 256               // scale StrideD *= numRows(32) * bpe
s_add_u32  s[sgprSrdD+0], s[sgprSrdD+0], s56       // incToNextRow: gra SRD += inc(lower)
s_addc_u32  s[sgprSrdD+1], s[sgprSrdD+1], 0        // incToNextRow: gra SRD += inc(upper)
v_mov_b32 v10, 32                                  // set shift rows
_v_add_u32 v5, v5, v10                             // shift storeRemap coord1

s_waitcnt vmcnt(7)                                 // wait C (interleaved) 7 = 8 - 0 + 0 - 1
_v_mac_f32 v[vgprValuC+20], v16, s[sgprBeta]       // finalSum Cr += old Cr * Br
_v_mac_f32 v[vgprValuC+20], v17, -s[sgprBeta+1]    // finalSum Cr += old Ci * -Bi
_v_mac_f32 v[vgprValuC+21], v17, s[sgprBeta]       // finalSum Ci += old Ci * Br
_v_mac_f32 v[vgprValuC+21], v16, s[sgprBeta+1]     // finalSum Ci += old Cr * Bi
_v_mac_f32 v[vgprValuC+22], v18, s[sgprBeta]       // finalSum Cr += old Cr * Br
_v_mac_f32 v[vgprValuC+22], v19, -s[sgprBeta+1]    // finalSum Cr += old Ci * -Bi
_v_mac_f32 v[vgprValuC+23], v19, s[sgprBeta]       // finalSum Ci += old Ci * Br
_v_mac_f32 v[vgprValuC+23], v18, s[sgprBeta+1]     // finalSum Ci += old Cr * Bi
_ds_store_b128 v7, v[20:23], offset:0              // storeRemap lw

s_waitcnt vmcnt(6)                                 // wait C (interleaved) 6 = 8 - 1 + 0 - 1
_v_mac_f32 v[vgprValuC+28], v24, s[sgprBeta]       // finalSum Cr += old Cr * Br
_v_mac_f32 v[vgprValuC+28], v25, -s[sgprBeta+1]    // finalSum Cr += old Ci * -Bi
_v_mac_f32 v[vgprValuC+29], v25, s[sgprBeta]       // finalSum Ci += old Ci * Br
_v_mac_f32 v[vgprValuC+29], v24, s[sgprBeta+1]     // finalSum Ci += old Cr * Bi
_v_mac_f32 v[vgprValuC+30], v26, s[sgprBeta]       // finalSum Cr += old Cr * Br
_v_mac_f32 v[vgprValuC+30], v27, -s[sgprBeta+1]    // finalSum Cr += old Ci * -Bi
_v_mac_f32 v[vgprValuC+31], v27, s[sgprBeta]       // finalSum Ci += old Ci * Br
_v_mac_f32 v[vgprValuC+31], v26, s[sgprBeta+1]     // finalSum Ci += old Cr * Bi
_ds_store_b128 v7, v[28:31], offset:16             // storeRemap lw

s_waitcnt vmcnt(5)                                 // wait C (interleaved) 5 = 8 - 2 + 0 - 1
_v_mac_f32 v[vgprValuC+36], v32, s[sgprBeta]       // finalSum Cr += old Cr * Br
_v_mac_f32 v[vgprValuC+36], v33, -s[sgprBeta+1]    // finalSum Cr += old Ci * -Bi
_v_mac_f32 v[vgprValuC+37], v33, s[sgprBeta]       // finalSum Ci += old Ci * Br
_v_mac_f32 v[vgprValuC+37], v32, s[sgprBeta+1]     // finalSum Ci += old Cr * Bi
_v_mac_f32 v[vgprValuC+38], v34, s[sgprBeta]       // finalSum Cr += old Cr * Br
_v_mac_f32 v[vgprValuC+38], v35, -s[sgprBeta+1]    // finalSum Cr += old Ci * -Bi
_v_mac_f32 v[vgprValuC+39], v35, s[sgprBeta]       // finalSum Ci += old Ci * Br
_v_mac_f32 v[vgprValuC+39], v34, s[sgprBeta+1]     // finalSum Ci += old Cr * Bi
_ds_store_b128 v7, v[36:39], offset:64             // storeRemap lw
	;; [unrolled: 11-line block ×3, first 2 shown]

s_waitcnt vmcnt(3)                                 // wait C (interleaved) 3 = 8 - 4 + 0 - 1
_v_mac_f32 v[vgprValuC+56], v52, s[sgprBeta]       // finalSum Cr += old Cr * Br
_v_mac_f32 v[vgprValuC+56], v53, -s[sgprBeta+1]    // finalSum Cr += old Ci * -Bi
_v_mac_f32 v[vgprValuC+57], v53, s[sgprBeta]       // finalSum Ci += old Ci * Br
_v_mac_f32 v[vgprValuC+57], v52, s[sgprBeta+1]     // finalSum Ci += old Cr * Bi
_v_mac_f32 v[vgprValuC+58], v54, s[sgprBeta]       // finalSum Cr += old Cr * Br
_v_mac_f32 v[vgprValuC+58], v55, -s[sgprBeta+1]    // finalSum Cr += old Ci * -Bi
_v_mac_f32 v[vgprValuC+59], v55, s[sgprBeta]       // finalSum Ci += old Ci * Br
_v_mac_f32 v[vgprValuC+59], v54, s[sgprBeta+1]     // finalSum Ci += old Cr * Bi
_ds_store_b128 v7, v[56:59], offset:128            // storeRemap lw

s_waitcnt vmcnt(2)                                 // wait C (interleaved) 2 = 8 - 5 + 0 - 1
_v_mac_f32 v[vgprValuC+64], v60, s[sgprBeta]       // finalSum Cr += old Cr * Br
_v_mac_f32 v[vgprValuC+64], v61, -s[sgprBeta+1]    // finalSum Cr += old Ci * -Bi
_v_mac_f32 v[vgprValuC+65], v61, s[sgprBeta]       // finalSum Ci += old Ci * Br
_v_mac_f32 v[vgprValuC+65], v60, s[sgprBeta+1]     // finalSum Ci += old Cr * Bi
_v_mac_f32 v[vgprValuC+66], v62, s[sgprBeta]       // finalSum Cr += old Cr * Br
_v_mac_f32 v[vgprValuC+66], v63, -s[sgprBeta+1]    // finalSum Cr += old Ci * -Bi
_v_mac_f32 v[vgprValuC+67], v63, s[sgprBeta]       // finalSum Ci += old Ci * Br
_v_mac_f32 v[vgprValuC+67], v62, s[sgprBeta+1]     // finalSum Ci += old Cr * Bi
_ds_store_b128 v7, v[64:67], offset:144            // storeRemap lw
	;; [unrolled: 11-line block ×4, first 2 shown]

/* Handle local read and global write */
s_waitcnt lgkmcnt(0)                               // wait for LDS write
s_barrier //wait all lds write finished

_ds_load_b128 v[16:19], v8, offset:0               // storeRemap lr
_ds_load_b128 v[20:23], v8, offset:1056            // storeRemap lr
_ds_load_b128 v[24:27], v8, offset:2112            // storeRemap lr
	;; [unrolled: 1-line block ×7, first 2 shown]

v_mov_b32 v13, v6                                  // coord1
v_mul_lo_u32 v13, v13, s[sgprStrideD1J]            // coord1 offset =  coord1 * StrideD
_v_add_lshl_u32 v13, v13, v4, 0x3                  // global write D address
s_waitcnt lgkmcnt(7)                               // wait for LDS read
_buffer_store_b128 v[16:19], v13, s[sgprSrdD:sgprSrdD+3], 0, offen, offset:0 // store D
_v_add_u32 v13, v6, 1                              // coord1 += nColPerLoad
v_mul_lo_u32 v13, v13, s[sgprStrideD1J]            // coord1 offset =  coord1 * StrideD
_v_add_lshl_u32 v13, v13, v4, 0x3                  // global write D address
s_waitcnt lgkmcnt(6)                               // wait for LDS read
_buffer_store_b128 v[20:23], v13, s[sgprSrdD:sgprSrdD+3], 0, offen, offset:0 // store D
_v_add_u32 v13, v6, 2                              // coord1 += nColPerLoad
	;; [unrolled: 5-line block ×7, first 2 shown]
v_mul_lo_u32 v13, v13, s[sgprStrideD1J]            // coord1 offset =  coord1 * StrideD
_v_add_lshl_u32 v13, v13, v4, 0x3                  // global write D address
s_waitcnt lgkmcnt(0)                               // wait for LDS read
_buffer_store_b128 v[48:51], v13, s[sgprSrdD:sgprSrdD+3], 0, offen, offset:0 // store D

s_barrier //wait all lds read finished
s_nop 0                                            // 1 wait state required when next inst writes vgprs held by previous dwordx4 store inst
s_branch label_GW_End_42                           // jump to end
GW_B1_E1_41:

/* edge=1, allocate 6 sgpr. perBatchTmpS=4 perBatchMaskS=2 perElementMaskS=0 elementsPerBatch=16 */
/* optSingleColVgpr=0 optSharedColVgpr=0 optSGPRUsage=BufferLoad_Edge_Mask optSrdIncForRow=1 */

/******************************************/
/* Global Write Alpha Beta Edge Batch #0 (d1,d0,vc1,vc0) = */
/*    (0,0,0,0:vw1); (0,0,0,1:vw1); (0,0,0,2:vw1); (0,0,0,3:vw1); (0,1,0,0:vw1); (0,1,0,1:vw1); (0,1,0,2:vw1); (0,1,0,3:vw1); (0,2,0,0:vw1); (0,2,0,1:vw1); (0,2,0,2:vw1); (0,2,0,3:vw1); (0,3,0,0:vw1); (0,3,0,1:vw1); (0,3,0,2:vw1); (0,3,0,3:vw1) */
/******************************************/

/* calc coords, apply mask, and issue loads (if necessary) */
/* (d1,vc1,d0,vc0)=(0,0,0,0) */
v_cmp_lt_u32 s[56:57], v0, s[sgprSizeI]            // coord0 < size0
v_cmp_lt_u32 s[60:61], v1, s[sgprSizeJ]            // coord1 < size1
s_and_b64 s[60:61], s[56:57], s[60:61]             // in0 && in1
_v_add_lshl_u32 v9, v2, v0, 0x3                    // scaleToBpe: accumulate d0 lower and *= bpe into Cin addr
v_cndmask_b32 v9, -1, v9, s[60:61]                 // LDC clip if OOB. offset
_buffer_load_b64 v[12:13], v9, s[sgprSrdC:sgprSrdC+3], 0, offen offset:0 // load C for beta calc
_v_add_lshl_u32 v9, v3, v0, 0x3                    // scaleToBpe: accumulate d0 lower and *= bpe into Cin addr
v_cndmask_b32 v9, -1, v9, s[60:61]                 // LDD clip if OOB. offset
/* (d1,vc1,d0,vc0)=(0,0,0,1) */
_v_add_co_u32 v10, vcc, v0, 1                      // coord0.1: coord0 += d0*sg0*VW + vc0
v_cmp_lt_u32 s[56:57], v10, s[sgprSizeI]           // coord0 < size0
v_cmp_lt_u32 s[60:61], v1, s[sgprSizeJ]            // coord1 < size1
s_and_b64 s[60:61], s[56:57], s[60:61]             // in0 && in1
_v_add_lshl_u32 v16, v2, v10, 0x3                  // scaleToBpe: accumulate d0 lower and *= bpe into Cin addr
v_cndmask_b32 v16, -1, v16, s[60:61]               // LDC clip if OOB. offset
_buffer_load_b64 v[18:19], v16, s[sgprSrdC:sgprSrdC+3], 0, offen offset:0 // load C for beta calc
_v_add_lshl_u32 v16, v3, v10, 0x3                  // scaleToBpe: accumulate d0 lower and *= bpe into Cin addr
v_cndmask_b32 v16, -1, v16, s[60:61]               // LDD clip if OOB. offset
/* (d1,vc1,d0,vc0)=(0,0,0,2) */
_v_add_co_u32 v10, vcc, v0, 2                      // coord0.1: coord0 += d0*sg0*VW + vc0
v_cmp_lt_u32 s[56:57], v10, s[sgprSizeI]           // coord0 < size0
v_cmp_lt_u32 s[60:61], v1, s[sgprSizeJ]            // coord1 < size1
s_and_b64 s[60:61], s[56:57], s[60:61]             // in0 && in1
_v_add_lshl_u32 v17, v2, v10, 0x3                  // scaleToBpe: accumulate d0 lower and *= bpe into Cin addr
v_cndmask_b32 v17, -1, v17, s[60:61]               // LDC clip if OOB. offset
_buffer_load_b64 v[22:23], v17, s[sgprSrdC:sgprSrdC+3], 0, offen offset:0 // load C for beta calc
_v_add_lshl_u32 v17, v3, v10, 0x3                  // scaleToBpe: accumulate d0 lower and *= bpe into Cin addr
v_cndmask_b32 v17, -1, v17, s[60:61]               // LDD clip if OOB. offset
	;; [unrolled: 10-line block ×5, first 2 shown]
/* (d1,vc1,d0,vc0)=(0,0,1,2) */
_v_add_co_u32 v10, vcc, v0, 10                     // coord0.1: coord0 += d0*sg0*VW + vc0
v_cmp_lt_u32 s[56:57], v10, s[sgprSizeI]           // coord0 < size0
v_cmp_lt_u32 s[60:61], v1, s[sgprSizeJ]            // coord1 < size1
s_and_b64 s[60:61], s[56:57], s[60:61]             // in0 && in1
_v_add_lshl_u32 v37, v2, v10, 0x3                  // scaleToBpe: accumulate d0 lower and *= bpe into Cin addr
v_cndmask_b32 v37, -1, v37, s[60:61]               // LDC clip if OOB. offset
_buffer_load_b64 v[46:47], v37, s[sgprSrdC:sgprSrdC+3], 0, offen offset:0 // load C for beta calc
_v_add_lshl_u32 v37, v3, v10, 0x3                  // scaleToBpe: accumulate d0 lower and *= bpe into Cin addr
v_cndmask_b32 v37, -1, v37, s[60:61]               // LDD clip if OOB. offset
/* (d1,vc1,d0,vc0)=(0,0,1,3) */
_v_add_co_u32 v10, vcc, v0, 11                     // coord0.1: coord0 += d0*sg0*VW + vc0
v_cmp_lt_u32 s[56:57], v10, s[sgprSizeI]           // coord0 < size0
v_cmp_lt_u32 s[60:61], v1, s[sgprSizeJ]            // coord1 < size1
s_and_b64 s[60:61], s[56:57], s[60:61]             // in0 && in1
_v_add_lshl_u32 v43, v2, v10, 0x3                  // scaleToBpe: accumulate d0 lower and *= bpe into Cin addr
v_cndmask_b32 v43, -1, v43, s[60:61]               // LDC clip if OOB. offset
_buffer_load_b64 v[50:51], v43, s[sgprSrdC:sgprSrdC+3], 0, offen offset:0 // load C for beta calc
_v_add_lshl_u32 v43, v3, v10, 0x3                  // scaleToBpe: accumulate d0 lower and *= bpe into Cin addr
v_cndmask_b32 v43, -1, v43, s[60:61]               // LDD clip if OOB. offset
/* (d1,vc1,d0,vc0)=(0,0,2,0) */
_v_add_co_u32 v10, vcc, v0, 16                     // coord0.1: coord0 += d0*sg0*VW + vc0
v_cmp_lt_u32 s[56:57], v10, s[sgprSizeI]           // coord0 < size0
v_cmp_lt_u32 s[60:61], v1, s[sgprSizeJ]            // coord1 < size1
s_and_b64 s[60:61], s[56:57], s[60:61]             // in0 && in1
_v_add_lshl_u32 v54, v2, v10, 0x3                  // scaleToBpe: accumulate d0 lower and *= bpe into Cin addr
v_cndmask_b32 v54, -1, v54, s[60:61]               // LDC clip if OOB. offset
_buffer_load_b64 v[56:57], v54, s[sgprSrdC:sgprSrdC+3], 0, offen offset:0 // load C for beta calc
_v_add_lshl_u32 v54, v3, v10, 0x3                  // scaleToBpe: accumulate d0 lower and *= bpe into Cin addr
v_cndmask_b32 v54, -1, v54, s[60:61]               // LDD clip if OOB. offset
/* (d1,vc1,d0,vc0)=(0,0,2,1) */
_v_add_co_u32 v10, vcc, v0, 17                     // coord0.1: coord0 += d0*sg0*VW + vc0
v_cmp_lt_u32 s[56:57], v10, s[sgprSizeI]           // coord0 < size0
v_cmp_lt_u32 s[60:61], v1, s[sgprSizeJ]            // coord1 < size1
s_and_b64 s[60:61], s[56:57], s[60:61]             // in0 && in1
_v_add_lshl_u32 v55, v2, v10, 0x3                  // scaleToBpe: accumulate d0 lower and *= bpe into Cin addr
v_cndmask_b32 v55, -1, v55, s[60:61]               // LDC clip if OOB. offset
_buffer_load_b64 v[60:61], v55, s[sgprSrdC:sgprSrdC+3], 0, offen offset:0 // load C for beta calc
_v_add_lshl_u32 v55, v3, v10, 0x3                  // scaleToBpe: accumulate d0 lower and *= bpe into Cin addr
v_cndmask_b32 v55, -1, v55, s[60:61]               // LDD clip if OOB. offset
/* (d1,vc1,d0,vc0)=(0,0,2,2) */
_v_add_co_u32 v10, vcc, v0, 18                     // coord0.1: coord0 += d0*sg0*VW + vc0
v_cmp_lt_u32 s[56:57], v10, s[sgprSizeI]           // coord0 < size0
v_cmp_lt_u32 s[60:61], v1, s[sgprSizeJ]            // coord1 < size1
s_and_b64 s[60:61], s[56:57], s[60:61]             // in0 && in1
_v_add_lshl_u32 v64, v2, v10, 0x3                  // scaleToBpe: accumulate d0 lower and *= bpe into Cin addr
v_cndmask_b32 v64, -1, v64, s[60:61]               // LDC clip if OOB. offset
_buffer_load_b64 v[66:67], v64, s[sgprSrdC:sgprSrdC+3], 0, offen offset:0 // load C for beta calc
_v_add_lshl_u32 v64, v3, v10, 0x3                  // scaleToBpe: accumulate d0 lower and *= bpe into Cin addr
v_cndmask_b32 v64, -1, v64, s[60:61]               // LDD clip if OOB. offset
/* (d1,vc1,d0,vc0)=(0,0,2,3) */
_v_add_co_u32 v10, vcc, v0, 19                     // coord0.1: coord0 += d0*sg0*VW + vc0
v_cmp_lt_u32 s[56:57], v10, s[sgprSizeI]           // coord0 < size0
v_cmp_lt_u32 s[60:61], v1, s[sgprSizeJ]            // coord1 < size1
s_and_b64 s[60:61], s[56:57], s[60:61]             // in0 && in1
_v_add_lshl_u32 v65, v2, v10, 0x3                  // scaleToBpe: accumulate d0 lower and *= bpe into Cin addr
v_cndmask_b32 v65, -1, v65, s[60:61]               // LDC clip if OOB. offset
_buffer_load_b64 v[70:71], v65, s[sgprSrdC:sgprSrdC+3], 0, offen offset:0 // load C for beta calc
_v_add_lshl_u32 v65, v3, v10, 0x3                  // scaleToBpe: accumulate d0 lower and *= bpe into Cin addr
v_cndmask_b32 v65, -1, v65, s[60:61]               // LDD clip if OOB. offset
/* (d1,vc1,d0,vc0)=(0,0,3,0) */
_v_add_co_u32 v10, vcc, v0, 24                     // coord0.1: coord0 += d0*sg0*VW + vc0
v_cmp_lt_u32 s[56:57], v10, s[sgprSizeI]           // coord0 < size0
v_cmp_lt_u32 s[60:61], v1, s[sgprSizeJ]            // coord1 < size1
s_and_b64 s[60:61], s[56:57], s[60:61]             // in0 && in1
_v_add_lshl_u32 v74, v2, v10, 0x3                  // scaleToBpe: accumulate d0 lower and *= bpe into Cin addr
v_cndmask_b32 v74, -1, v74, s[60:61]               // LDC clip if OOB. offset
_buffer_load_b64 v[76:77], v74, s[sgprSrdC:sgprSrdC+3], 0, offen offset:0 // load C for beta calc
_v_add_lshl_u32 v74, v3, v10, 0x3                  // scaleToBpe: accumulate d0 lower and *= bpe into Cin addr
v_cndmask_b32 v74, -1, v74, s[60:61]               // LDD clip if OOB. offset
/* (d1,vc1,d0,vc0)=(0,0,3,1) */
_v_add_co_u32 v10, vcc, v0, 25                     // coord0.1: coord0 += d0*sg0*VW + vc0
v_cmp_lt_u32 s[56:57], v10, s[sgprSizeI]           // coord0 < size0
v_cmp_lt_u32 s[60:61], v1, s[sgprSizeJ]            // coord1 < size1
s_and_b64 s[60:61], s[56:57], s[60:61]             // in0 && in1
_v_add_lshl_u32 v75, v2, v10, 0x3                  // scaleToBpe: accumulate d0 lower and *= bpe into Cin addr
v_cndmask_b32 v75, -1, v75, s[60:61]               // LDC clip if OOB. offset
_buffer_load_b64 v[80:81], v75, s[sgprSrdC:sgprSrdC+3], 0, offen offset:0 // load C for beta calc
_v_add_lshl_u32 v75, v3, v10, 0x3                  // scaleToBpe: accumulate d0 lower and *= bpe into Cin addr
v_cndmask_b32 v75, -1, v75, s[60:61]               // LDD clip if OOB. offset
/* (d1,vc1,d0,vc0)=(0,0,3,2) */
_v_add_co_u32 v10, vcc, v0, 26                     // coord0.1: coord0 += d0*sg0*VW + vc0
v_cmp_lt_u32 s[56:57], v10, s[sgprSizeI]           // coord0 < size0
v_cmp_lt_u32 s[60:61], v1, s[sgprSizeJ]            // coord1 < size1
s_and_b64 s[60:61], s[56:57], s[60:61]             // in0 && in1
_v_add_lshl_u32 v84, v2, v10, 0x3                  // scaleToBpe: accumulate d0 lower and *= bpe into Cin addr
v_cndmask_b32 v84, -1, v84, s[60:61]               // LDC clip if OOB. offset
_buffer_load_b64 v[86:87], v84, s[sgprSrdC:sgprSrdC+3], 0, offen offset:0 // load C for beta calc
_v_add_lshl_u32 v84, v3, v10, 0x3                  // scaleToBpe: accumulate d0 lower and *= bpe into Cin addr
v_cndmask_b32 v84, -1, v84, s[60:61]               // LDD clip if OOB. offset
/* (d1,vc1,d0,vc0)=(0,0,3,3) */
_v_add_co_u32 v10, vcc, v0, 27                     // coord0.1: coord0 += d0*sg0*VW + vc0
v_cmp_lt_u32 s[56:57], v10, s[sgprSizeI]           // coord0 < size0
v_cmp_lt_u32 s[60:61], v1, s[sgprSizeJ]            // coord1 < size1
s_and_b64 s[60:61], s[56:57], s[60:61]             // in0 && in1
_v_add_lshl_u32 v85, v2, v10, 0x3                  // scaleToBpe: accumulate d0 lower and *= bpe into Cin addr
v_cndmask_b32 v85, -1, v85, s[60:61]               // LDC clip if OOB. offset
_buffer_load_b64 v[90:91], v85, s[sgprSrdC:sgprSrdC+3], 0, offen offset:0 // load C for beta calc
_v_add_lshl_u32 v85, v3, v10, 0x3                  // scaleToBpe: accumulate d0 lower and *= bpe into Cin addr
v_cndmask_b32 v85, -1, v85, s[60:61]               // LDD clip if OOB. offset
v_accvgpr_read_b32 v[vgprValuC+14], acc0 // copy acc to vreg[0]
v_accvgpr_read_b32 v[vgprValuC+15], acc64 // copy acc to vreg[1]
v_accvgpr_read_b32 v[vgprValuC+20], acc1 // copy acc to vreg[2]
v_accvgpr_read_b32 v[vgprValuC+21], acc65 // copy acc to vreg[3]
v_accvgpr_read_b32 v[vgprValuC+24], acc2 // copy acc to vreg[4]
v_accvgpr_read_b32 v[vgprValuC+25], acc66 // copy acc to vreg[5]
v_accvgpr_read_b32 v[vgprValuC+30], acc3 // copy acc to vreg[6]
v_accvgpr_read_b32 v[vgprValuC+31], acc67 // copy acc to vreg[7]
v_accvgpr_read_b32 v[vgprValuC+34], acc4 // copy acc to vreg[8]
v_accvgpr_read_b32 v[vgprValuC+35], acc68 // copy acc to vreg[9]
v_accvgpr_read_b32 v[vgprValuC+44], acc5 // copy acc to vreg[10]
v_accvgpr_read_b32 v[vgprValuC+45], acc69 // copy acc to vreg[11]
v_accvgpr_read_b32 v[vgprValuC+48], acc6 // copy acc to vreg[12]
v_accvgpr_read_b32 v[vgprValuC+49], acc70 // copy acc to vreg[13]
v_accvgpr_read_b32 v[vgprValuC+52], acc7 // copy acc to vreg[14]
v_accvgpr_read_b32 v[vgprValuC+53], acc71 // copy acc to vreg[15]
v_accvgpr_read_b32 v[vgprValuC+58], acc8 // copy acc to vreg[16]
v_accvgpr_read_b32 v[vgprValuC+59], acc72 // copy acc to vreg[17]
v_accvgpr_read_b32 v[vgprValuC+62], acc9 // copy acc to vreg[18]
v_accvgpr_read_b32 v[vgprValuC+63], acc73 // copy acc to vreg[19]
v_accvgpr_read_b32 v[vgprValuC+68], acc10 // copy acc to vreg[20]
v_accvgpr_read_b32 v[vgprValuC+69], acc74 // copy acc to vreg[21]
v_accvgpr_read_b32 v[vgprValuC+72], acc11 // copy acc to vreg[22]
v_accvgpr_read_b32 v[vgprValuC+73], acc75 // copy acc to vreg[23]
v_accvgpr_read_b32 v[vgprValuC+78], acc12 // copy acc to vreg[24]
v_accvgpr_read_b32 v[vgprValuC+79], acc76 // copy acc to vreg[25]
v_accvgpr_read_b32 v[vgprValuC+82], acc13 // copy acc to vreg[26]
v_accvgpr_read_b32 v[vgprValuC+83], acc77 // copy acc to vreg[27]
v_accvgpr_read_b32 v[vgprValuC+88], acc14 // copy acc to vreg[28]
v_accvgpr_read_b32 v[vgprValuC+89], acc78 // copy acc to vreg[29]
v_accvgpr_read_b32 v[vgprValuC+92], acc15 // copy acc to vreg[30]
v_accvgpr_read_b32 v[vgprValuC+93], acc79 // copy acc to vreg[31]
s_nop 1                                            // 2 wait states required before reading vgpr

/* rC *= alpha batchElements=[(0, 0, 0, 0), (0, 0, 0, 1), (0, 0, 0, 2), (0, 0, 0, 3), (0, 1, 0, 0), (0, 1, 0, 1), (0, 1, 0, 2), (0, 1, 0, 3), (0, 2, 0, 0), (0, 2, 0, 1), (0, 2, 0, 2), (0, 2, 0, 3), (0, 3, 0, 0), (0, 3, 0, 1), (0, 3, 0, 2), (0, 3, 0, 3)] */
v_mov_b32 v94, v[vgprValuC+14]                     // store Cr
v_mul_f32 v[vgprValuC+14], s[sgprAlpha], v[vgprValuC+14] // *= alpha ( Cr = Ar * Cr)
_v_mac_f32 v[vgprValuC+14], -s[sgprAlpha+1], v[vgprValuC+15] // *= alpha ( Cr += -Ai * Ci )
v_mul_f32 v[vgprValuC+15], s[sgprAlpha], v[vgprValuC+15] // *= alpha ( Ci = Ar * Ci)
_v_mac_f32 v[vgprValuC+15], s[sgprAlpha+1], v94    // *= alpha ( Ci += Ai * Cr_backup )
v_mov_b32 v94, v[vgprValuC+20]                     // store Cr
v_mul_f32 v[vgprValuC+20], s[sgprAlpha], v[vgprValuC+20] // *= alpha ( Cr = Ar * Cr)
_v_mac_f32 v[vgprValuC+20], -s[sgprAlpha+1], v[vgprValuC+21] // *= alpha ( Cr += -Ai * Ci )
v_mul_f32 v[vgprValuC+21], s[sgprAlpha], v[vgprValuC+21] // *= alpha ( Ci = Ar * Ci)
_v_mac_f32 v[vgprValuC+21], s[sgprAlpha+1], v94    // *= alpha ( Ci += Ai * Cr_backup )
v_mov_b32 v94, v[vgprValuC+24]                     // store Cr
v_mul_f32 v[vgprValuC+24], s[sgprAlpha], v[vgprValuC+24] // *= alpha ( Cr = Ar * Cr)
_v_mac_f32 v[vgprValuC+24], -s[sgprAlpha+1], v[vgprValuC+25] // *= alpha ( Cr += -Ai * Ci )
v_mul_f32 v[vgprValuC+25], s[sgprAlpha], v[vgprValuC+25] // *= alpha ( Ci = Ar * Ci)
_v_mac_f32 v[vgprValuC+25], s[sgprAlpha+1], v94    // *= alpha ( Ci += Ai * Cr_backup )
v_mov_b32 v94, v[vgprValuC+30]                     // store Cr
v_mul_f32 v[vgprValuC+30], s[sgprAlpha], v[vgprValuC+30] // *= alpha ( Cr = Ar * Cr)
_v_mac_f32 v[vgprValuC+30], -s[sgprAlpha+1], v[vgprValuC+31] // *= alpha ( Cr += -Ai * Ci )
v_mul_f32 v[vgprValuC+31], s[sgprAlpha], v[vgprValuC+31] // *= alpha ( Ci = Ar * Ci)
_v_mac_f32 v[vgprValuC+31], s[sgprAlpha+1], v94    // *= alpha ( Ci += Ai * Cr_backup )
v_mov_b32 v94, v[vgprValuC+34]                     // store Cr
v_mul_f32 v[vgprValuC+34], s[sgprAlpha], v[vgprValuC+34] // *= alpha ( Cr = Ar * Cr)
_v_mac_f32 v[vgprValuC+34], -s[sgprAlpha+1], v[vgprValuC+35] // *= alpha ( Cr += -Ai * Ci )
v_mul_f32 v[vgprValuC+35], s[sgprAlpha], v[vgprValuC+35] // *= alpha ( Ci = Ar * Ci)
_v_mac_f32 v[vgprValuC+35], s[sgprAlpha+1], v94    // *= alpha ( Ci += Ai * Cr_backup )
v_mov_b32 v94, v[vgprValuC+44]                     // store Cr
v_mul_f32 v[vgprValuC+44], s[sgprAlpha], v[vgprValuC+44] // *= alpha ( Cr = Ar * Cr)
_v_mac_f32 v[vgprValuC+44], -s[sgprAlpha+1], v[vgprValuC+45] // *= alpha ( Cr += -Ai * Ci )
v_mul_f32 v[vgprValuC+45], s[sgprAlpha], v[vgprValuC+45] // *= alpha ( Ci = Ar * Ci)
_v_mac_f32 v[vgprValuC+45], s[sgprAlpha+1], v94    // *= alpha ( Ci += Ai * Cr_backup )
v_mov_b32 v94, v[vgprValuC+48]                     // store Cr
v_mul_f32 v[vgprValuC+48], s[sgprAlpha], v[vgprValuC+48] // *= alpha ( Cr = Ar * Cr)
_v_mac_f32 v[vgprValuC+48], -s[sgprAlpha+1], v[vgprValuC+49] // *= alpha ( Cr += -Ai * Ci )
v_mul_f32 v[vgprValuC+49], s[sgprAlpha], v[vgprValuC+49] // *= alpha ( Ci = Ar * Ci)
_v_mac_f32 v[vgprValuC+49], s[sgprAlpha+1], v94    // *= alpha ( Ci += Ai * Cr_backup )
v_mov_b32 v94, v[vgprValuC+52]                     // store Cr
v_mul_f32 v[vgprValuC+52], s[sgprAlpha], v[vgprValuC+52] // *= alpha ( Cr = Ar * Cr)
_v_mac_f32 v[vgprValuC+52], -s[sgprAlpha+1], v[vgprValuC+53] // *= alpha ( Cr += -Ai * Ci )
v_mul_f32 v[vgprValuC+53], s[sgprAlpha], v[vgprValuC+53] // *= alpha ( Ci = Ar * Ci)
_v_mac_f32 v[vgprValuC+53], s[sgprAlpha+1], v94    // *= alpha ( Ci += Ai * Cr_backup )
v_mov_b32 v94, v[vgprValuC+58]                     // store Cr
v_mul_f32 v[vgprValuC+58], s[sgprAlpha], v[vgprValuC+58] // *= alpha ( Cr = Ar * Cr)
_v_mac_f32 v[vgprValuC+58], -s[sgprAlpha+1], v[vgprValuC+59] // *= alpha ( Cr += -Ai * Ci )
v_mul_f32 v[vgprValuC+59], s[sgprAlpha], v[vgprValuC+59] // *= alpha ( Ci = Ar * Ci)
_v_mac_f32 v[vgprValuC+59], s[sgprAlpha+1], v94    // *= alpha ( Ci += Ai * Cr_backup )
v_mov_b32 v94, v[vgprValuC+62]                     // store Cr
v_mul_f32 v[vgprValuC+62], s[sgprAlpha], v[vgprValuC+62] // *= alpha ( Cr = Ar * Cr)
_v_mac_f32 v[vgprValuC+62], -s[sgprAlpha+1], v[vgprValuC+63] // *= alpha ( Cr += -Ai * Ci )
v_mul_f32 v[vgprValuC+63], s[sgprAlpha], v[vgprValuC+63] // *= alpha ( Ci = Ar * Ci)
_v_mac_f32 v[vgprValuC+63], s[sgprAlpha+1], v94    // *= alpha ( Ci += Ai * Cr_backup )
v_mov_b32 v94, v[vgprValuC+68]                     // store Cr
v_mul_f32 v[vgprValuC+68], s[sgprAlpha], v[vgprValuC+68] // *= alpha ( Cr = Ar * Cr)
_v_mac_f32 v[vgprValuC+68], -s[sgprAlpha+1], v[vgprValuC+69] // *= alpha ( Cr += -Ai * Ci )
v_mul_f32 v[vgprValuC+69], s[sgprAlpha], v[vgprValuC+69] // *= alpha ( Ci = Ar * Ci)
_v_mac_f32 v[vgprValuC+69], s[sgprAlpha+1], v94    // *= alpha ( Ci += Ai * Cr_backup )
v_mov_b32 v94, v[vgprValuC+72]                     // store Cr
v_mul_f32 v[vgprValuC+72], s[sgprAlpha], v[vgprValuC+72] // *= alpha ( Cr = Ar * Cr)
_v_mac_f32 v[vgprValuC+72], -s[sgprAlpha+1], v[vgprValuC+73] // *= alpha ( Cr += -Ai * Ci )
v_mul_f32 v[vgprValuC+73], s[sgprAlpha], v[vgprValuC+73] // *= alpha ( Ci = Ar * Ci)
_v_mac_f32 v[vgprValuC+73], s[sgprAlpha+1], v94    // *= alpha ( Ci += Ai * Cr_backup )
v_mov_b32 v94, v[vgprValuC+78]                     // store Cr
v_mul_f32 v[vgprValuC+78], s[sgprAlpha], v[vgprValuC+78] // *= alpha ( Cr = Ar * Cr)
_v_mac_f32 v[vgprValuC+78], -s[sgprAlpha+1], v[vgprValuC+79] // *= alpha ( Cr += -Ai * Ci )
v_mul_f32 v[vgprValuC+79], s[sgprAlpha], v[vgprValuC+79] // *= alpha ( Ci = Ar * Ci)
_v_mac_f32 v[vgprValuC+79], s[sgprAlpha+1], v94    // *= alpha ( Ci += Ai * Cr_backup )
v_mov_b32 v94, v[vgprValuC+82]                     // store Cr
v_mul_f32 v[vgprValuC+82], s[sgprAlpha], v[vgprValuC+82] // *= alpha ( Cr = Ar * Cr)
_v_mac_f32 v[vgprValuC+82], -s[sgprAlpha+1], v[vgprValuC+83] // *= alpha ( Cr += -Ai * Ci )
v_mul_f32 v[vgprValuC+83], s[sgprAlpha], v[vgprValuC+83] // *= alpha ( Ci = Ar * Ci)
_v_mac_f32 v[vgprValuC+83], s[sgprAlpha+1], v94    // *= alpha ( Ci += Ai * Cr_backup )
v_mov_b32 v94, v[vgprValuC+88]                     // store Cr
v_mul_f32 v[vgprValuC+88], s[sgprAlpha], v[vgprValuC+88] // *= alpha ( Cr = Ar * Cr)
_v_mac_f32 v[vgprValuC+88], -s[sgprAlpha+1], v[vgprValuC+89] // *= alpha ( Cr += -Ai * Ci )
v_mul_f32 v[vgprValuC+89], s[sgprAlpha], v[vgprValuC+89] // *= alpha ( Ci = Ar * Ci)
_v_mac_f32 v[vgprValuC+89], s[sgprAlpha+1], v94    // *= alpha ( Ci += Ai * Cr_backup )
v_mov_b32 v94, v[vgprValuC+92]                     // store Cr
v_mul_f32 v[vgprValuC+92], s[sgprAlpha], v[vgprValuC+92] // *= alpha ( Cr = Ar * Cr)
_v_mac_f32 v[vgprValuC+92], -s[sgprAlpha+1], v[vgprValuC+93] // *= alpha ( Cr += -Ai * Ci )
v_mul_f32 v[vgprValuC+93], s[sgprAlpha], v[vgprValuC+93] // *= alpha ( Ci = Ar * Ci)
_v_mac_f32 v[vgprValuC+93], s[sgprAlpha+1], v94    // *= alpha ( Ci += Ai * Cr_backup )
s_waitcnt vmcnt(0)                                 // wait C

/* apply mask, calc new C and issue writes */
_v_mac_f32 v[vgprValuC+14], v12, s[sgprBeta]       // finalSum Cr += old Cr * Br
_v_mac_f32 v[vgprValuC+14], v13, -s[sgprBeta+1]    // finalSum Cr += old Ci * -Bi
_v_mac_f32 v[vgprValuC+15], v13, s[sgprBeta]       // finalSum Ci += old Ci * Br
_v_mac_f32 v[vgprValuC+15], v12, s[sgprBeta+1]     // finalSum Ci += old Cr * Bi
_ds_store_b64 v7, v[14:15], offset:0               // storeRemap lw
_v_mac_f32 v[vgprValuC+20], v18, s[sgprBeta]       // finalSum Cr += old Cr * Br
_v_mac_f32 v[vgprValuC+20], v19, -s[sgprBeta+1]    // finalSum Cr += old Ci * -Bi
_v_mac_f32 v[vgprValuC+21], v19, s[sgprBeta]       // finalSum Ci += old Ci * Br
_v_mac_f32 v[vgprValuC+21], v18, s[sgprBeta+1]     // finalSum Ci += old Cr * Bi
_ds_store_b64 v7, v[20:21], offset:8               // storeRemap lw
_v_mac_f32 v[vgprValuC+24], v22, s[sgprBeta]       // finalSum Cr += old Cr * Br
_v_mac_f32 v[vgprValuC+24], v23, -s[sgprBeta+1]    // finalSum Cr += old Ci * -Bi
_v_mac_f32 v[vgprValuC+25], v23, s[sgprBeta]       // finalSum Ci += old Ci * Br
_v_mac_f32 v[vgprValuC+25], v22, s[sgprBeta+1]     // finalSum Ci += old Cr * Bi
_ds_store_b64 v7, v[24:25], offset:16              // storeRemap lw
_v_mac_f32 v[vgprValuC+30], v28, s[sgprBeta]       // finalSum Cr += old Cr * Br
_v_mac_f32 v[vgprValuC+30], v29, -s[sgprBeta+1]    // finalSum Cr += old Ci * -Bi
_v_mac_f32 v[vgprValuC+31], v29, s[sgprBeta]       // finalSum Ci += old Ci * Br
_v_mac_f32 v[vgprValuC+31], v28, s[sgprBeta+1]     // finalSum Ci += old Cr * Bi
_ds_store_b64 v7, v[30:31], offset:24              // storeRemap lw
	;; [unrolled: 5-line block ×6, first 2 shown]
_v_mac_f32 v[vgprValuC+58], v56, s[sgprBeta]       // finalSum Cr += old Cr * Br
_v_mac_f32 v[vgprValuC+58], v57, -s[sgprBeta+1]    // finalSum Cr += old Ci * -Bi
_v_mac_f32 v[vgprValuC+59], v57, s[sgprBeta]       // finalSum Ci += old Ci * Br
_v_mac_f32 v[vgprValuC+59], v56, s[sgprBeta+1]     // finalSum Ci += old Cr * Bi
_ds_store_b64 v7, v[58:59], offset:128             // storeRemap lw
_v_mac_f32 v[vgprValuC+62], v60, s[sgprBeta]       // finalSum Cr += old Cr * Br
_v_mac_f32 v[vgprValuC+62], v61, -s[sgprBeta+1]    // finalSum Cr += old Ci * -Bi
_v_mac_f32 v[vgprValuC+63], v61, s[sgprBeta]       // finalSum Ci += old Ci * Br
_v_mac_f32 v[vgprValuC+63], v60, s[sgprBeta+1]     // finalSum Ci += old Cr * Bi
_ds_store_b64 v7, v[62:63], offset:136             // storeRemap lw
	;; [unrolled: 5-line block ×8, first 2 shown]

/* Handle local read and global write */
s_waitcnt lgkmcnt(0)                               // wait for LDS write
s_barrier //wait all lds write finished

_ds_load_b128 v[12:15], v8, offset:0               // storeRemap lr
_ds_load_b128 v[16:19], v8, offset:1056            // storeRemap lr
_ds_load_b128 v[20:23], v8, offset:2112            // storeRemap lr
	;; [unrolled: 1-line block ×7, first 2 shown]

s_waitcnt lgkmcnt(7)                               // wait for LDS read
_v_add_u32 v11, v5, 0                              // coord1 += nColPerLoad
_v_add_u32 v10, v4, 0                              // coord0 += element index of load vector
_v_add_u32 v9, v6, 0                               // offset coord1 += nColPerLoad
v_cmp_lt_u32 s[56:57], v10, s[sgprSizeI]           // coord0 < size0
v_cmp_lt_u32 s[58:59], v11, s[sgprSizeJ]           // coord1 < size1
s_and_b64 s[58:59], s[56:57], s[58:59]             // in0 && in1
v_mul_lo_u32 v9, v9, s[sgprStrideD1J]              // coord1 element offset =  coord1 * StrideD
_v_add_lshl_u32 v9, v9, v10, 0x3                   // scale to BPE
v_cndmask_b32 v9, -1, v9, s[58:59]                 // clip if OOB. offset
_buffer_store_b64 v[12:13], v9, s[sgprSrdD:sgprSrdD+3], 0, offen, offset:0 // store D
_v_add_u32 v11, v5, 0                              // coord1 += nColPerLoad
_v_add_u32 v10, v4, 1                              // coord0 += element index of load vector
_v_add_u32 v9, v6, 0                               // offset coord1 += nColPerLoad
v_cmp_lt_u32 s[56:57], v10, s[sgprSizeI]           // coord0 < size0
v_cmp_lt_u32 s[58:59], v11, s[sgprSizeJ]           // coord1 < size1
s_and_b64 s[58:59], s[56:57], s[58:59]             // in0 && in1
v_mul_lo_u32 v9, v9, s[sgprStrideD1J]              // coord1 element offset =  coord1 * StrideD
_v_add_lshl_u32 v9, v9, v10, 0x3                   // scale to BPE
v_cndmask_b32 v9, -1, v9, s[58:59]                 // clip if OOB. offset
_buffer_store_b64 v[14:15], v9, s[sgprSrdD:sgprSrdD+3], 0, offen, offset:0 // store D
s_waitcnt lgkmcnt(6)                               // wait for LDS read
_v_add_u32 v11, v5, 1                              // coord1 += nColPerLoad
_v_add_u32 v10, v4, 0                              // coord0 += element index of load vector
_v_add_u32 v9, v6, 1                               // offset coord1 += nColPerLoad
v_cmp_lt_u32 s[56:57], v10, s[sgprSizeI]           // coord0 < size0
v_cmp_lt_u32 s[58:59], v11, s[sgprSizeJ]           // coord1 < size1
s_and_b64 s[58:59], s[56:57], s[58:59]             // in0 && in1
v_mul_lo_u32 v9, v9, s[sgprStrideD1J]              // coord1 element offset =  coord1 * StrideD
_v_add_lshl_u32 v9, v9, v10, 0x3                   // scale to BPE
v_cndmask_b32 v9, -1, v9, s[58:59]                 // clip if OOB. offset
_buffer_store_b64 v[16:17], v9, s[sgprSrdD:sgprSrdD+3], 0, offen, offset:0 // store D
_v_add_u32 v11, v5, 1                              // coord1 += nColPerLoad
_v_add_u32 v10, v4, 1                              // coord0 += element index of load vector
_v_add_u32 v9, v6, 1                               // offset coord1 += nColPerLoad
v_cmp_lt_u32 s[56:57], v10, s[sgprSizeI]           // coord0 < size0
v_cmp_lt_u32 s[58:59], v11, s[sgprSizeJ]           // coord1 < size1
s_and_b64 s[58:59], s[56:57], s[58:59]             // in0 && in1
v_mul_lo_u32 v9, v9, s[sgprStrideD1J]              // coord1 element offset =  coord1 * StrideD
_v_add_lshl_u32 v9, v9, v10, 0x3                   // scale to BPE
v_cndmask_b32 v9, -1, v9, s[58:59]                 // clip if OOB. offset
_buffer_store_b64 v[18:19], v9, s[sgprSrdD:sgprSrdD+3], 0, offen, offset:0 // store D
	;; [unrolled: 21-line block ×8, first 2 shown]

s_barrier //wait all lds read finished
s_nop 0                                            // 1 wait state required when next inst writes vgprs held by previous dwordx4 store inst
/* optSingleColVgpr=0 optSharedColVgpr=0 optSGPRUsage=BufferLoad_Edge_Mask optSrdIncForRow=1 */

/******************************************/
/* Global Write Alpha Beta Edge Batch #1 (d1,d0,vc1,vc0) = */
/*    (1,0,0,0:vw1); (1,0,0,1:vw1); (1,0,0,2:vw1); (1,0,0,3:vw1); (1,1,0,0:vw1); (1,1,0,1:vw1); (1,1,0,2:vw1); (1,1,0,3:vw1); (1,2,0,0:vw1); (1,2,0,1:vw1); (1,2,0,2:vw1); (1,2,0,3:vw1); (1,3,0,0:vw1); (1,3,0,1:vw1); (1,3,0,2:vw1); (1,3,0,3:vw1) */
/******************************************/

/* calc coords, apply mask, and issue loads (if necessary) */
/* (d1,vc1,d0,vc0)=(1,0,0,0) */
_v_add_co_u32 v1, vcc, v1, 32                      // coord1.1: coord1Vgpr += d1*sg1*VW + vc1
v_cmp_lt_u32 s[56:57], v0, s[sgprSizeI]            // coord0 < size0
v_cmp_lt_u32 s[60:61], v1, s[sgprSizeJ]            // coord1 < size1
s_and_b64 s[60:61], s[56:57], s[60:61]             // in0 && in1
_v_add_lshl_u32 v9, v2, v0, 0x3                    // scaleToBpe: accumulate d0 lower and *= bpe into Cin addr
v_cndmask_b32 v9, -1, v9, s[60:61]                 // LDC clip if OOB. offset
s_mul_i32 s56, s[sgprStrideC1J], 256               // scale StrideC *= numRows(32) * bpe
s_add_u32  s[sgprSrdC+0], s[sgprSrdC+0], s56       // incToNextRow: gra SRD += inc(lower)
s_addc_u32  s[sgprSrdC+1], s[sgprSrdC+1], 0        // incToNextRow: gra SRD += inc(upper)
_buffer_load_b64 v[12:13], v9, s[sgprSrdC:sgprSrdC+3], 0, offen offset:0 // load C for beta calc
_v_add_lshl_u32 v9, v3, v0, 0x3                    // scaleToBpe: accumulate d0 lower and *= bpe into Cin addr
v_cndmask_b32 v9, -1, v9, s[60:61]                 // LDD clip if OOB. offset
/* (d1,vc1,d0,vc0)=(1,0,0,1) */
_v_add_co_u32 v10, vcc, v0, 1                      // coord0.1: coord0 += d0*sg0*VW + vc0
v_cmp_lt_u32 s[56:57], v10, s[sgprSizeI]           // coord0 < size0
v_cmp_lt_u32 s[60:61], v1, s[sgprSizeJ]            // coord1 < size1
s_and_b64 s[60:61], s[56:57], s[60:61]             // in0 && in1
_v_add_lshl_u32 v16, v2, v10, 0x3                  // scaleToBpe: accumulate d0 lower and *= bpe into Cin addr
v_cndmask_b32 v16, -1, v16, s[60:61]               // LDC clip if OOB. offset
_buffer_load_b64 v[18:19], v16, s[sgprSrdC:sgprSrdC+3], 0, offen offset:0 // load C for beta calc
_v_add_lshl_u32 v16, v3, v10, 0x3                  // scaleToBpe: accumulate d0 lower and *= bpe into Cin addr
v_cndmask_b32 v16, -1, v16, s[60:61]               // LDD clip if OOB. offset
/* (d1,vc1,d0,vc0)=(1,0,0,2) */
_v_add_co_u32 v10, vcc, v0, 2                      // coord0.1: coord0 += d0*sg0*VW + vc0
v_cmp_lt_u32 s[56:57], v10, s[sgprSizeI]           // coord0 < size0
v_cmp_lt_u32 s[60:61], v1, s[sgprSizeJ]            // coord1 < size1
s_and_b64 s[60:61], s[56:57], s[60:61]             // in0 && in1
_v_add_lshl_u32 v17, v2, v10, 0x3                  // scaleToBpe: accumulate d0 lower and *= bpe into Cin addr
v_cndmask_b32 v17, -1, v17, s[60:61]               // LDC clip if OOB. offset
_buffer_load_b64 v[22:23], v17, s[sgprSrdC:sgprSrdC+3], 0, offen offset:0 // load C for beta calc
_v_add_lshl_u32 v17, v3, v10, 0x3                  // scaleToBpe: accumulate d0 lower and *= bpe into Cin addr
v_cndmask_b32 v17, -1, v17, s[60:61]               // LDD clip if OOB. offset
/* (d1,vc1,d0,vc0)=(1,0,0,3) */
_v_add_co_u32 v10, vcc, v0, 3                      // coord0.1: coord0 += d0*sg0*VW + vc0
v_cmp_lt_u32 s[56:57], v10, s[sgprSizeI]           // coord0 < size0
v_cmp_lt_u32 s[60:61], v1, s[sgprSizeJ]            // coord1 < size1
s_and_b64 s[60:61], s[56:57], s[60:61]             // in0 && in1
_v_add_lshl_u32 v26, v2, v10, 0x3                  // scaleToBpe: accumulate d0 lower and *= bpe into Cin addr
v_cndmask_b32 v26, -1, v26, s[60:61]               // LDC clip if OOB. offset
_buffer_load_b64 v[28:29], v26, s[sgprSrdC:sgprSrdC+3], 0, offen offset:0 // load C for beta calc
_v_add_lshl_u32 v26, v3, v10, 0x3                  // scaleToBpe: accumulate d0 lower and *= bpe into Cin addr
v_cndmask_b32 v26, -1, v26, s[60:61]               // LDD clip if OOB. offset
/* (d1,vc1,d0,vc0)=(1,0,1,0) */
_v_add_co_u32 v10, vcc, v0, 8                      // coord0.1: coord0 += d0*sg0*VW + vc0
v_cmp_lt_u32 s[56:57], v10, s[sgprSizeI]           // coord0 < size0
v_cmp_lt_u32 s[60:61], v1, s[sgprSizeJ]            // coord1 < size1
s_and_b64 s[60:61], s[56:57], s[60:61]             // in0 && in1
_v_add_lshl_u32 v27, v2, v10, 0x3                  // scaleToBpe: accumulate d0 lower and *= bpe into Cin addr
v_cndmask_b32 v27, -1, v27, s[60:61]               // LDC clip if OOB. offset
_buffer_load_b64 v[32:33], v27, s[sgprSrdC:sgprSrdC+3], 0, offen offset:0 // load C for beta calc
_v_add_lshl_u32 v27, v3, v10, 0x3                  // scaleToBpe: accumulate d0 lower and *= bpe into Cin addr
v_cndmask_b32 v27, -1, v27, s[60:61]               // LDD clip if OOB. offset
/* (d1,vc1,d0,vc0)=(1,0,1,1) */
_v_add_co_u32 v10, vcc, v0, 9                      // coord0.1: coord0 += d0*sg0*VW + vc0
v_cmp_lt_u32 s[56:57], v10, s[sgprSizeI]           // coord0 < size0
v_cmp_lt_u32 s[60:61], v1, s[sgprSizeJ]            // coord1 < size1
s_and_b64 s[60:61], s[56:57], s[60:61]             // in0 && in1
_v_add_lshl_u32 v36, v2, v10, 0x3                  // scaleToBpe: accumulate d0 lower and *= bpe into Cin addr
v_cndmask_b32 v36, -1, v36, s[60:61]               // LDC clip if OOB. offset
_buffer_load_b64 v[38:39], v36, s[sgprSrdC:sgprSrdC+3], 0, offen offset:0 // load C for beta calc
_v_add_lshl_u32 v36, v3, v10, 0x3                  // scaleToBpe: accumulate d0 lower and *= bpe into Cin addr
v_cndmask_b32 v36, -1, v36, s[60:61]               // LDD clip if OOB. offset
/* (d1,vc1,d0,vc0)=(1,0,1,2) */
_v_add_co_u32 v10, vcc, v0, 10                     // coord0.1: coord0 += d0*sg0*VW + vc0
v_cmp_lt_u32 s[56:57], v10, s[sgprSizeI]           // coord0 < size0
v_cmp_lt_u32 s[60:61], v1, s[sgprSizeJ]            // coord1 < size1
s_and_b64 s[60:61], s[56:57], s[60:61]             // in0 && in1
_v_add_lshl_u32 v37, v2, v10, 0x3                  // scaleToBpe: accumulate d0 lower and *= bpe into Cin addr
v_cndmask_b32 v37, -1, v37, s[60:61]               // LDC clip if OOB. offset
_buffer_load_b64 v[46:47], v37, s[sgprSrdC:sgprSrdC+3], 0, offen offset:0 // load C for beta calc
_v_add_lshl_u32 v37, v3, v10, 0x3                  // scaleToBpe: accumulate d0 lower and *= bpe into Cin addr
v_cndmask_b32 v37, -1, v37, s[60:61]               // LDD clip if OOB. offset
/* (d1,vc1,d0,vc0)=(1,0,1,3) */
_v_add_co_u32 v10, vcc, v0, 11                     // coord0.1: coord0 += d0*sg0*VW + vc0
v_cmp_lt_u32 s[56:57], v10, s[sgprSizeI]           // coord0 < size0
v_cmp_lt_u32 s[60:61], v1, s[sgprSizeJ]            // coord1 < size1
s_and_b64 s[60:61], s[56:57], s[60:61]             // in0 && in1
_v_add_lshl_u32 v43, v2, v10, 0x3                  // scaleToBpe: accumulate d0 lower and *= bpe into Cin addr
v_cndmask_b32 v43, -1, v43, s[60:61]               // LDC clip if OOB. offset
_buffer_load_b64 v[50:51], v43, s[sgprSrdC:sgprSrdC+3], 0, offen offset:0 // load C for beta calc
_v_add_lshl_u32 v43, v3, v10, 0x3                  // scaleToBpe: accumulate d0 lower and *= bpe into Cin addr
v_cndmask_b32 v43, -1, v43, s[60:61]               // LDD clip if OOB. offset
	;; [unrolled: 10-line block ×10, first 2 shown]
v_accvgpr_read_b32 v[vgprValuC+14], acc16 // copy acc to vreg[32]
v_accvgpr_read_b32 v[vgprValuC+15], acc80 // copy acc to vreg[33]
v_accvgpr_read_b32 v[vgprValuC+20], acc17 // copy acc to vreg[34]
v_accvgpr_read_b32 v[vgprValuC+21], acc81 // copy acc to vreg[35]
v_accvgpr_read_b32 v[vgprValuC+24], acc18 // copy acc to vreg[36]
v_accvgpr_read_b32 v[vgprValuC+25], acc82 // copy acc to vreg[37]
v_accvgpr_read_b32 v[vgprValuC+30], acc19 // copy acc to vreg[38]
v_accvgpr_read_b32 v[vgprValuC+31], acc83 // copy acc to vreg[39]
v_accvgpr_read_b32 v[vgprValuC+34], acc20 // copy acc to vreg[40]
v_accvgpr_read_b32 v[vgprValuC+35], acc84 // copy acc to vreg[41]
v_accvgpr_read_b32 v[vgprValuC+44], acc21 // copy acc to vreg[42]
v_accvgpr_read_b32 v[vgprValuC+45], acc85 // copy acc to vreg[43]
v_accvgpr_read_b32 v[vgprValuC+48], acc22 // copy acc to vreg[44]
v_accvgpr_read_b32 v[vgprValuC+49], acc86 // copy acc to vreg[45]
v_accvgpr_read_b32 v[vgprValuC+52], acc23 // copy acc to vreg[46]
v_accvgpr_read_b32 v[vgprValuC+53], acc87 // copy acc to vreg[47]
v_accvgpr_read_b32 v[vgprValuC+58], acc24 // copy acc to vreg[48]
v_accvgpr_read_b32 v[vgprValuC+59], acc88 // copy acc to vreg[49]
v_accvgpr_read_b32 v[vgprValuC+62], acc25 // copy acc to vreg[50]
v_accvgpr_read_b32 v[vgprValuC+63], acc89 // copy acc to vreg[51]
v_accvgpr_read_b32 v[vgprValuC+68], acc26 // copy acc to vreg[52]
v_accvgpr_read_b32 v[vgprValuC+69], acc90 // copy acc to vreg[53]
v_accvgpr_read_b32 v[vgprValuC+72], acc27 // copy acc to vreg[54]
v_accvgpr_read_b32 v[vgprValuC+73], acc91 // copy acc to vreg[55]
v_accvgpr_read_b32 v[vgprValuC+78], acc28 // copy acc to vreg[56]
v_accvgpr_read_b32 v[vgprValuC+79], acc92 // copy acc to vreg[57]
v_accvgpr_read_b32 v[vgprValuC+82], acc29 // copy acc to vreg[58]
v_accvgpr_read_b32 v[vgprValuC+83], acc93 // copy acc to vreg[59]
v_accvgpr_read_b32 v[vgprValuC+88], acc30 // copy acc to vreg[60]
v_accvgpr_read_b32 v[vgprValuC+89], acc94 // copy acc to vreg[61]
v_accvgpr_read_b32 v[vgprValuC+92], acc31 // copy acc to vreg[62]
v_accvgpr_read_b32 v[vgprValuC+93], acc95 // copy acc to vreg[63]
s_nop 1                                            // 2 wait states required before reading vgpr

/* rC *= alpha batchElements=[(1, 0, 0, 0), (1, 0, 0, 1), (1, 0, 0, 2), (1, 0, 0, 3), (1, 1, 0, 0), (1, 1, 0, 1), (1, 1, 0, 2), (1, 1, 0, 3), (1, 2, 0, 0), (1, 2, 0, 1), (1, 2, 0, 2), (1, 2, 0, 3), (1, 3, 0, 0), (1, 3, 0, 1), (1, 3, 0, 2), (1, 3, 0, 3)] */
v_mov_b32 v94, v[vgprValuC+14]                     // store Cr
v_mul_f32 v[vgprValuC+14], s[sgprAlpha], v[vgprValuC+14] // *= alpha ( Cr = Ar * Cr)
_v_mac_f32 v[vgprValuC+14], -s[sgprAlpha+1], v[vgprValuC+15] // *= alpha ( Cr += -Ai * Ci )
v_mul_f32 v[vgprValuC+15], s[sgprAlpha], v[vgprValuC+15] // *= alpha ( Ci = Ar * Ci)
_v_mac_f32 v[vgprValuC+15], s[sgprAlpha+1], v94    // *= alpha ( Ci += Ai * Cr_backup )
v_mov_b32 v94, v[vgprValuC+20]                     // store Cr
v_mul_f32 v[vgprValuC+20], s[sgprAlpha], v[vgprValuC+20] // *= alpha ( Cr = Ar * Cr)
_v_mac_f32 v[vgprValuC+20], -s[sgprAlpha+1], v[vgprValuC+21] // *= alpha ( Cr += -Ai * Ci )
v_mul_f32 v[vgprValuC+21], s[sgprAlpha], v[vgprValuC+21] // *= alpha ( Ci = Ar * Ci)
_v_mac_f32 v[vgprValuC+21], s[sgprAlpha+1], v94    // *= alpha ( Ci += Ai * Cr_backup )
	;; [unrolled: 5-line block ×16, first 2 shown]
s_waitcnt vmcnt(0)                                 // wait C

/* apply mask, calc new C and issue writes */

/* StoreRemap: shift coord1 address */
s_mul_i32 s56, s[sgprStrideD1J], 256               // scale StrideD *= numRows(32) * bpe
s_add_u32  s[sgprSrdD+0], s[sgprSrdD+0], s56       // incToNextRow: gra SRD += inc(lower)
s_addc_u32  s[sgprSrdD+1], s[sgprSrdD+1], 0        // incToNextRow: gra SRD += inc(upper)
v_mov_b32 v10, 32                                  // set shift rows
_v_add_u32 v5, v5, v10                             // shift storeRemap coord1
_v_mac_f32 v[vgprValuC+14], v12, s[sgprBeta]       // finalSum Cr += old Cr * Br
_v_mac_f32 v[vgprValuC+14], v13, -s[sgprBeta+1]    // finalSum Cr += old Ci * -Bi
_v_mac_f32 v[vgprValuC+15], v13, s[sgprBeta]       // finalSum Ci += old Ci * Br
_v_mac_f32 v[vgprValuC+15], v12, s[sgprBeta+1]     // finalSum Ci += old Cr * Bi
_ds_store_b64 v7, v[14:15], offset:0               // storeRemap lw
_v_mac_f32 v[vgprValuC+20], v18, s[sgprBeta]       // finalSum Cr += old Cr * Br
_v_mac_f32 v[vgprValuC+20], v19, -s[sgprBeta+1]    // finalSum Cr += old Ci * -Bi
_v_mac_f32 v[vgprValuC+21], v19, s[sgprBeta]       // finalSum Ci += old Ci * Br
_v_mac_f32 v[vgprValuC+21], v18, s[sgprBeta+1]     // finalSum Ci += old Cr * Bi
_ds_store_b64 v7, v[20:21], offset:8               // storeRemap lw
_v_mac_f32 v[vgprValuC+24], v22, s[sgprBeta]       // finalSum Cr += old Cr * Br
_v_mac_f32 v[vgprValuC+24], v23, -s[sgprBeta+1]    // finalSum Cr += old Ci * -Bi
_v_mac_f32 v[vgprValuC+25], v23, s[sgprBeta]       // finalSum Ci += old Ci * Br
_v_mac_f32 v[vgprValuC+25], v22, s[sgprBeta+1]     // finalSum Ci += old Cr * Bi
_ds_store_b64 v7, v[24:25], offset:16              // storeRemap lw
_v_mac_f32 v[vgprValuC+30], v28, s[sgprBeta]       // finalSum Cr += old Cr * Br
_v_mac_f32 v[vgprValuC+30], v29, -s[sgprBeta+1]    // finalSum Cr += old Ci * -Bi
_v_mac_f32 v[vgprValuC+31], v29, s[sgprBeta]       // finalSum Ci += old Ci * Br
_v_mac_f32 v[vgprValuC+31], v28, s[sgprBeta+1]     // finalSum Ci += old Cr * Bi
_ds_store_b64 v7, v[30:31], offset:24              // storeRemap lw
	;; [unrolled: 5-line block ×6, first 2 shown]
_v_mac_f32 v[vgprValuC+58], v56, s[sgprBeta]       // finalSum Cr += old Cr * Br
_v_mac_f32 v[vgprValuC+58], v57, -s[sgprBeta+1]    // finalSum Cr += old Ci * -Bi
_v_mac_f32 v[vgprValuC+59], v57, s[sgprBeta]       // finalSum Ci += old Ci * Br
_v_mac_f32 v[vgprValuC+59], v56, s[sgprBeta+1]     // finalSum Ci += old Cr * Bi
_ds_store_b64 v7, v[58:59], offset:128             // storeRemap lw
_v_mac_f32 v[vgprValuC+62], v60, s[sgprBeta]       // finalSum Cr += old Cr * Br
_v_mac_f32 v[vgprValuC+62], v61, -s[sgprBeta+1]    // finalSum Cr += old Ci * -Bi
_v_mac_f32 v[vgprValuC+63], v61, s[sgprBeta]       // finalSum Ci += old Ci * Br
_v_mac_f32 v[vgprValuC+63], v60, s[sgprBeta+1]     // finalSum Ci += old Cr * Bi
_ds_store_b64 v7, v[62:63], offset:136             // storeRemap lw
	;; [unrolled: 5-line block ×8, first 2 shown]

/* Handle local read and global write */
s_waitcnt lgkmcnt(0)                               // wait for LDS write
s_barrier //wait all lds write finished

_ds_load_b128 v[12:15], v8, offset:0               // storeRemap lr
_ds_load_b128 v[16:19], v8, offset:1056            // storeRemap lr
_ds_load_b128 v[20:23], v8, offset:2112            // storeRemap lr
	;; [unrolled: 1-line block ×7, first 2 shown]

s_waitcnt lgkmcnt(7)                               // wait for LDS read
_v_add_u32 v11, v5, 0                              // coord1 += nColPerLoad
_v_add_u32 v10, v4, 0                              // coord0 += element index of load vector
_v_add_u32 v9, v6, 0                               // offset coord1 += nColPerLoad
v_cmp_lt_u32 s[56:57], v10, s[sgprSizeI]           // coord0 < size0
v_cmp_lt_u32 s[58:59], v11, s[sgprSizeJ]           // coord1 < size1
s_and_b64 s[58:59], s[56:57], s[58:59]             // in0 && in1
v_mul_lo_u32 v9, v9, s[sgprStrideD1J]              // coord1 element offset =  coord1 * StrideD
_v_add_lshl_u32 v9, v9, v10, 0x3                   // scale to BPE
v_cndmask_b32 v9, -1, v9, s[58:59]                 // clip if OOB. offset
_buffer_store_b64 v[12:13], v9, s[sgprSrdD:sgprSrdD+3], 0, offen, offset:0 // store D
_v_add_u32 v11, v5, 0                              // coord1 += nColPerLoad
_v_add_u32 v10, v4, 1                              // coord0 += element index of load vector
_v_add_u32 v9, v6, 0                               // offset coord1 += nColPerLoad
v_cmp_lt_u32 s[56:57], v10, s[sgprSizeI]           // coord0 < size0
v_cmp_lt_u32 s[58:59], v11, s[sgprSizeJ]           // coord1 < size1
s_and_b64 s[58:59], s[56:57], s[58:59]             // in0 && in1
v_mul_lo_u32 v9, v9, s[sgprStrideD1J]              // coord1 element offset =  coord1 * StrideD
_v_add_lshl_u32 v9, v9, v10, 0x3                   // scale to BPE
v_cndmask_b32 v9, -1, v9, s[58:59]                 // clip if OOB. offset
_buffer_store_b64 v[14:15], v9, s[sgprSrdD:sgprSrdD+3], 0, offen, offset:0 // store D
s_waitcnt lgkmcnt(6)                               // wait for LDS read
_v_add_u32 v11, v5, 1                              // coord1 += nColPerLoad
_v_add_u32 v10, v4, 0                              // coord0 += element index of load vector
_v_add_u32 v9, v6, 1                               // offset coord1 += nColPerLoad
v_cmp_lt_u32 s[56:57], v10, s[sgprSizeI]           // coord0 < size0
v_cmp_lt_u32 s[58:59], v11, s[sgprSizeJ]           // coord1 < size1
s_and_b64 s[58:59], s[56:57], s[58:59]             // in0 && in1
v_mul_lo_u32 v9, v9, s[sgprStrideD1J]              // coord1 element offset =  coord1 * StrideD
_v_add_lshl_u32 v9, v9, v10, 0x3                   // scale to BPE
v_cndmask_b32 v9, -1, v9, s[58:59]                 // clip if OOB. offset
_buffer_store_b64 v[16:17], v9, s[sgprSrdD:sgprSrdD+3], 0, offen, offset:0 // store D
_v_add_u32 v11, v5, 1                              // coord1 += nColPerLoad
_v_add_u32 v10, v4, 1                              // coord0 += element index of load vector
_v_add_u32 v9, v6, 1                               // offset coord1 += nColPerLoad
v_cmp_lt_u32 s[56:57], v10, s[sgprSizeI]           // coord0 < size0
v_cmp_lt_u32 s[58:59], v11, s[sgprSizeJ]           // coord1 < size1
s_and_b64 s[58:59], s[56:57], s[58:59]             // in0 && in1
v_mul_lo_u32 v9, v9, s[sgprStrideD1J]              // coord1 element offset =  coord1 * StrideD
_v_add_lshl_u32 v9, v9, v10, 0x3                   // scale to BPE
v_cndmask_b32 v9, -1, v9, s[58:59]                 // clip if OOB. offset
_buffer_store_b64 v[18:19], v9, s[sgprSrdD:sgprSrdD+3], 0, offen, offset:0 // store D
	;; [unrolled: 21-line block ×8, first 2 shown]

s_barrier //wait all lds read finished
s_nop 0                                            // 1 wait state required when next inst writes vgprs held by previous dwordx4 store inst
/* optSingleColVgpr=0 optSharedColVgpr=0 optSGPRUsage=BufferLoad_Edge_Mask optSrdIncForRow=1 */

/******************************************/
/* Global Write Alpha Beta Edge Batch #2 (d1,d0,vc1,vc0) = */
/*    (2,0,0,0:vw1); (2,0,0,1:vw1); (2,0,0,2:vw1); (2,0,0,3:vw1); (2,1,0,0:vw1); (2,1,0,1:vw1); (2,1,0,2:vw1); (2,1,0,3:vw1); (2,2,0,0:vw1); (2,2,0,1:vw1); (2,2,0,2:vw1); (2,2,0,3:vw1); (2,3,0,0:vw1); (2,3,0,1:vw1); (2,3,0,2:vw1); (2,3,0,3:vw1) */
/******************************************/

/* calc coords, apply mask, and issue loads (if necessary) */
/* (d1,vc1,d0,vc0)=(2,0,0,0) */
_v_add_co_u32 v1, vcc, v1, 32                      // coord1.1: coord1Vgpr += d1*sg1*VW + vc1
v_cmp_lt_u32 s[56:57], v0, s[sgprSizeI]            // coord0 < size0
v_cmp_lt_u32 s[60:61], v1, s[sgprSizeJ]            // coord1 < size1
s_and_b64 s[60:61], s[56:57], s[60:61]             // in0 && in1
_v_add_lshl_u32 v9, v2, v0, 0x3                    // scaleToBpe: accumulate d0 lower and *= bpe into Cin addr
v_cndmask_b32 v9, -1, v9, s[60:61]                 // LDC clip if OOB. offset
s_mul_i32 s56, s[sgprStrideC1J], 256               // scale StrideC *= numRows(32) * bpe
s_add_u32  s[sgprSrdC+0], s[sgprSrdC+0], s56       // incToNextRow: gra SRD += inc(lower)
s_addc_u32  s[sgprSrdC+1], s[sgprSrdC+1], 0        // incToNextRow: gra SRD += inc(upper)
_buffer_load_b64 v[12:13], v9, s[sgprSrdC:sgprSrdC+3], 0, offen offset:0 // load C for beta calc
_v_add_lshl_u32 v9, v3, v0, 0x3                    // scaleToBpe: accumulate d0 lower and *= bpe into Cin addr
v_cndmask_b32 v9, -1, v9, s[60:61]                 // LDD clip if OOB. offset
/* (d1,vc1,d0,vc0)=(2,0,0,1) */
_v_add_co_u32 v10, vcc, v0, 1                      // coord0.1: coord0 += d0*sg0*VW + vc0
v_cmp_lt_u32 s[56:57], v10, s[sgprSizeI]           // coord0 < size0
v_cmp_lt_u32 s[60:61], v1, s[sgprSizeJ]            // coord1 < size1
s_and_b64 s[60:61], s[56:57], s[60:61]             // in0 && in1
_v_add_lshl_u32 v16, v2, v10, 0x3                  // scaleToBpe: accumulate d0 lower and *= bpe into Cin addr
v_cndmask_b32 v16, -1, v16, s[60:61]               // LDC clip if OOB. offset
_buffer_load_b64 v[18:19], v16, s[sgprSrdC:sgprSrdC+3], 0, offen offset:0 // load C for beta calc
_v_add_lshl_u32 v16, v3, v10, 0x3                  // scaleToBpe: accumulate d0 lower and *= bpe into Cin addr
v_cndmask_b32 v16, -1, v16, s[60:61]               // LDD clip if OOB. offset
/* (d1,vc1,d0,vc0)=(2,0,0,2) */
_v_add_co_u32 v10, vcc, v0, 2                      // coord0.1: coord0 += d0*sg0*VW + vc0
v_cmp_lt_u32 s[56:57], v10, s[sgprSizeI]           // coord0 < size0
v_cmp_lt_u32 s[60:61], v1, s[sgprSizeJ]            // coord1 < size1
s_and_b64 s[60:61], s[56:57], s[60:61]             // in0 && in1
_v_add_lshl_u32 v17, v2, v10, 0x3                  // scaleToBpe: accumulate d0 lower and *= bpe into Cin addr
v_cndmask_b32 v17, -1, v17, s[60:61]               // LDC clip if OOB. offset
_buffer_load_b64 v[22:23], v17, s[sgprSrdC:sgprSrdC+3], 0, offen offset:0 // load C for beta calc
_v_add_lshl_u32 v17, v3, v10, 0x3                  // scaleToBpe: accumulate d0 lower and *= bpe into Cin addr
v_cndmask_b32 v17, -1, v17, s[60:61]               // LDD clip if OOB. offset
	;; [unrolled: 10-line block ×5, first 2 shown]
/* (d1,vc1,d0,vc0)=(2,0,1,2) */
_v_add_co_u32 v10, vcc, v0, 10                     // coord0.1: coord0 += d0*sg0*VW + vc0
v_cmp_lt_u32 s[56:57], v10, s[sgprSizeI]           // coord0 < size0
v_cmp_lt_u32 s[60:61], v1, s[sgprSizeJ]            // coord1 < size1
s_and_b64 s[60:61], s[56:57], s[60:61]             // in0 && in1
_v_add_lshl_u32 v37, v2, v10, 0x3                  // scaleToBpe: accumulate d0 lower and *= bpe into Cin addr
v_cndmask_b32 v37, -1, v37, s[60:61]               // LDC clip if OOB. offset
_buffer_load_b64 v[46:47], v37, s[sgprSrdC:sgprSrdC+3], 0, offen offset:0 // load C for beta calc
_v_add_lshl_u32 v37, v3, v10, 0x3                  // scaleToBpe: accumulate d0 lower and *= bpe into Cin addr
v_cndmask_b32 v37, -1, v37, s[60:61]               // LDD clip if OOB. offset
/* (d1,vc1,d0,vc0)=(2,0,1,3) */
_v_add_co_u32 v10, vcc, v0, 11                     // coord0.1: coord0 += d0*sg0*VW + vc0
v_cmp_lt_u32 s[56:57], v10, s[sgprSizeI]           // coord0 < size0
v_cmp_lt_u32 s[60:61], v1, s[sgprSizeJ]            // coord1 < size1
s_and_b64 s[60:61], s[56:57], s[60:61]             // in0 && in1
_v_add_lshl_u32 v43, v2, v10, 0x3                  // scaleToBpe: accumulate d0 lower and *= bpe into Cin addr
v_cndmask_b32 v43, -1, v43, s[60:61]               // LDC clip if OOB. offset
_buffer_load_b64 v[50:51], v43, s[sgprSrdC:sgprSrdC+3], 0, offen offset:0 // load C for beta calc
_v_add_lshl_u32 v43, v3, v10, 0x3                  // scaleToBpe: accumulate d0 lower and *= bpe into Cin addr
v_cndmask_b32 v43, -1, v43, s[60:61]               // LDD clip if OOB. offset
	;; [unrolled: 10-line block ×10, first 2 shown]
v_accvgpr_read_b32 v[vgprValuC+14], acc32 // copy acc to vreg[64]
v_accvgpr_read_b32 v[vgprValuC+15], acc96 // copy acc to vreg[65]
v_accvgpr_read_b32 v[vgprValuC+20], acc33 // copy acc to vreg[66]
v_accvgpr_read_b32 v[vgprValuC+21], acc97 // copy acc to vreg[67]
v_accvgpr_read_b32 v[vgprValuC+24], acc34 // copy acc to vreg[68]
v_accvgpr_read_b32 v[vgprValuC+25], acc98 // copy acc to vreg[69]
v_accvgpr_read_b32 v[vgprValuC+30], acc35 // copy acc to vreg[70]
v_accvgpr_read_b32 v[vgprValuC+31], acc99 // copy acc to vreg[71]
v_accvgpr_read_b32 v[vgprValuC+34], acc36 // copy acc to vreg[72]
v_accvgpr_read_b32 v[vgprValuC+35], acc100 // copy acc to vreg[73]
v_accvgpr_read_b32 v[vgprValuC+44], acc37 // copy acc to vreg[74]
v_accvgpr_read_b32 v[vgprValuC+45], acc101 // copy acc to vreg[75]
v_accvgpr_read_b32 v[vgprValuC+48], acc38 // copy acc to vreg[76]
v_accvgpr_read_b32 v[vgprValuC+49], acc102 // copy acc to vreg[77]
v_accvgpr_read_b32 v[vgprValuC+52], acc39 // copy acc to vreg[78]
v_accvgpr_read_b32 v[vgprValuC+53], acc103 // copy acc to vreg[79]
v_accvgpr_read_b32 v[vgprValuC+58], acc40 // copy acc to vreg[80]
v_accvgpr_read_b32 v[vgprValuC+59], acc104 // copy acc to vreg[81]
v_accvgpr_read_b32 v[vgprValuC+62], acc41 // copy acc to vreg[82]
v_accvgpr_read_b32 v[vgprValuC+63], acc105 // copy acc to vreg[83]
v_accvgpr_read_b32 v[vgprValuC+68], acc42 // copy acc to vreg[84]
v_accvgpr_read_b32 v[vgprValuC+69], acc106 // copy acc to vreg[85]
v_accvgpr_read_b32 v[vgprValuC+72], acc43 // copy acc to vreg[86]
v_accvgpr_read_b32 v[vgprValuC+73], acc107 // copy acc to vreg[87]
v_accvgpr_read_b32 v[vgprValuC+78], acc44 // copy acc to vreg[88]
v_accvgpr_read_b32 v[vgprValuC+79], acc108 // copy acc to vreg[89]
v_accvgpr_read_b32 v[vgprValuC+82], acc45 // copy acc to vreg[90]
v_accvgpr_read_b32 v[vgprValuC+83], acc109 // copy acc to vreg[91]
v_accvgpr_read_b32 v[vgprValuC+88], acc46 // copy acc to vreg[92]
v_accvgpr_read_b32 v[vgprValuC+89], acc110 // copy acc to vreg[93]
v_accvgpr_read_b32 v[vgprValuC+92], acc47 // copy acc to vreg[94]
v_accvgpr_read_b32 v[vgprValuC+93], acc111 // copy acc to vreg[95]
s_nop 1                                            // 2 wait states required before reading vgpr

/* rC *= alpha batchElements=[(2, 0, 0, 0), (2, 0, 0, 1), (2, 0, 0, 2), (2, 0, 0, 3), (2, 1, 0, 0), (2, 1, 0, 1), (2, 1, 0, 2), (2, 1, 0, 3), (2, 2, 0, 0), (2, 2, 0, 1), (2, 2, 0, 2), (2, 2, 0, 3), (2, 3, 0, 0), (2, 3, 0, 1), (2, 3, 0, 2), (2, 3, 0, 3)] */
v_mov_b32 v94, v[vgprValuC+14]                     // store Cr
v_mul_f32 v[vgprValuC+14], s[sgprAlpha], v[vgprValuC+14] // *= alpha ( Cr = Ar * Cr)
_v_mac_f32 v[vgprValuC+14], -s[sgprAlpha+1], v[vgprValuC+15] // *= alpha ( Cr += -Ai * Ci )
v_mul_f32 v[vgprValuC+15], s[sgprAlpha], v[vgprValuC+15] // *= alpha ( Ci = Ar * Ci)
_v_mac_f32 v[vgprValuC+15], s[sgprAlpha+1], v94    // *= alpha ( Ci += Ai * Cr_backup )
v_mov_b32 v94, v[vgprValuC+20]                     // store Cr
v_mul_f32 v[vgprValuC+20], s[sgprAlpha], v[vgprValuC+20] // *= alpha ( Cr = Ar * Cr)
_v_mac_f32 v[vgprValuC+20], -s[sgprAlpha+1], v[vgprValuC+21] // *= alpha ( Cr += -Ai * Ci )
v_mul_f32 v[vgprValuC+21], s[sgprAlpha], v[vgprValuC+21] // *= alpha ( Ci = Ar * Ci)
_v_mac_f32 v[vgprValuC+21], s[sgprAlpha+1], v94    // *= alpha ( Ci += Ai * Cr_backup )
	;; [unrolled: 5-line block ×16, first 2 shown]
s_waitcnt vmcnt(0)                                 // wait C

/* apply mask, calc new C and issue writes */

/* StoreRemap: shift coord1 address */
s_mul_i32 s56, s[sgprStrideD1J], 256               // scale StrideD *= numRows(32) * bpe
s_add_u32  s[sgprSrdD+0], s[sgprSrdD+0], s56       // incToNextRow: gra SRD += inc(lower)
s_addc_u32  s[sgprSrdD+1], s[sgprSrdD+1], 0        // incToNextRow: gra SRD += inc(upper)
v_mov_b32 v10, 32                                  // set shift rows
_v_add_u32 v5, v5, v10                             // shift storeRemap coord1
_v_mac_f32 v[vgprValuC+14], v12, s[sgprBeta]       // finalSum Cr += old Cr * Br
_v_mac_f32 v[vgprValuC+14], v13, -s[sgprBeta+1]    // finalSum Cr += old Ci * -Bi
_v_mac_f32 v[vgprValuC+15], v13, s[sgprBeta]       // finalSum Ci += old Ci * Br
_v_mac_f32 v[vgprValuC+15], v12, s[sgprBeta+1]     // finalSum Ci += old Cr * Bi
_ds_store_b64 v7, v[14:15], offset:0               // storeRemap lw
_v_mac_f32 v[vgprValuC+20], v18, s[sgprBeta]       // finalSum Cr += old Cr * Br
_v_mac_f32 v[vgprValuC+20], v19, -s[sgprBeta+1]    // finalSum Cr += old Ci * -Bi
_v_mac_f32 v[vgprValuC+21], v19, s[sgprBeta]       // finalSum Ci += old Ci * Br
_v_mac_f32 v[vgprValuC+21], v18, s[sgprBeta+1]     // finalSum Ci += old Cr * Bi
_ds_store_b64 v7, v[20:21], offset:8               // storeRemap lw
_v_mac_f32 v[vgprValuC+24], v22, s[sgprBeta]       // finalSum Cr += old Cr * Br
_v_mac_f32 v[vgprValuC+24], v23, -s[sgprBeta+1]    // finalSum Cr += old Ci * -Bi
_v_mac_f32 v[vgprValuC+25], v23, s[sgprBeta]       // finalSum Ci += old Ci * Br
_v_mac_f32 v[vgprValuC+25], v22, s[sgprBeta+1]     // finalSum Ci += old Cr * Bi
_ds_store_b64 v7, v[24:25], offset:16              // storeRemap lw
_v_mac_f32 v[vgprValuC+30], v28, s[sgprBeta]       // finalSum Cr += old Cr * Br
_v_mac_f32 v[vgprValuC+30], v29, -s[sgprBeta+1]    // finalSum Cr += old Ci * -Bi
_v_mac_f32 v[vgprValuC+31], v29, s[sgprBeta]       // finalSum Ci += old Ci * Br
_v_mac_f32 v[vgprValuC+31], v28, s[sgprBeta+1]     // finalSum Ci += old Cr * Bi
_ds_store_b64 v7, v[30:31], offset:24              // storeRemap lw
_v_mac_f32 v[vgprValuC+34], v32, s[sgprBeta]       // finalSum Cr += old Cr * Br
_v_mac_f32 v[vgprValuC+34], v33, -s[sgprBeta+1]    // finalSum Cr += old Ci * -Bi
_v_mac_f32 v[vgprValuC+35], v33, s[sgprBeta]       // finalSum Ci += old Ci * Br
_v_mac_f32 v[vgprValuC+35], v32, s[sgprBeta+1]     // finalSum Ci += old Cr * Bi
_ds_store_b64 v7, v[34:35], offset:64              // storeRemap lw
_v_mac_f32 v[vgprValuC+44], v38, s[sgprBeta]       // finalSum Cr += old Cr * Br
_v_mac_f32 v[vgprValuC+44], v39, -s[sgprBeta+1]    // finalSum Cr += old Ci * -Bi
_v_mac_f32 v[vgprValuC+45], v39, s[sgprBeta]       // finalSum Ci += old Ci * Br
_v_mac_f32 v[vgprValuC+45], v38, s[sgprBeta+1]     // finalSum Ci += old Cr * Bi
_ds_store_b64 v7, v[44:45], offset:72              // storeRemap lw
_v_mac_f32 v[vgprValuC+48], v46, s[sgprBeta]       // finalSum Cr += old Cr * Br
_v_mac_f32 v[vgprValuC+48], v47, -s[sgprBeta+1]    // finalSum Cr += old Ci * -Bi
_v_mac_f32 v[vgprValuC+49], v47, s[sgprBeta]       // finalSum Ci += old Ci * Br
_v_mac_f32 v[vgprValuC+49], v46, s[sgprBeta+1]     // finalSum Ci += old Cr * Bi
_ds_store_b64 v7, v[48:49], offset:80              // storeRemap lw
_v_mac_f32 v[vgprValuC+52], v50, s[sgprBeta]       // finalSum Cr += old Cr * Br
_v_mac_f32 v[vgprValuC+52], v51, -s[sgprBeta+1]    // finalSum Cr += old Ci * -Bi
_v_mac_f32 v[vgprValuC+53], v51, s[sgprBeta]       // finalSum Ci += old Ci * Br
_v_mac_f32 v[vgprValuC+53], v50, s[sgprBeta+1]     // finalSum Ci += old Cr * Bi
_ds_store_b64 v7, v[52:53], offset:88              // storeRemap lw
_v_mac_f32 v[vgprValuC+58], v56, s[sgprBeta]       // finalSum Cr += old Cr * Br
_v_mac_f32 v[vgprValuC+58], v57, -s[sgprBeta+1]    // finalSum Cr += old Ci * -Bi
_v_mac_f32 v[vgprValuC+59], v57, s[sgprBeta]       // finalSum Ci += old Ci * Br
_v_mac_f32 v[vgprValuC+59], v56, s[sgprBeta+1]     // finalSum Ci += old Cr * Bi
_ds_store_b64 v7, v[58:59], offset:128             // storeRemap lw
_v_mac_f32 v[vgprValuC+62], v60, s[sgprBeta]       // finalSum Cr += old Cr * Br
_v_mac_f32 v[vgprValuC+62], v61, -s[sgprBeta+1]    // finalSum Cr += old Ci * -Bi
_v_mac_f32 v[vgprValuC+63], v61, s[sgprBeta]       // finalSum Ci += old Ci * Br
_v_mac_f32 v[vgprValuC+63], v60, s[sgprBeta+1]     // finalSum Ci += old Cr * Bi
_ds_store_b64 v7, v[62:63], offset:136             // storeRemap lw
	;; [unrolled: 5-line block ×8, first 2 shown]

/* Handle local read and global write */
s_waitcnt lgkmcnt(0)                               // wait for LDS write
s_barrier //wait all lds write finished

_ds_load_b128 v[12:15], v8, offset:0               // storeRemap lr
_ds_load_b128 v[16:19], v8, offset:1056            // storeRemap lr
_ds_load_b128 v[20:23], v8, offset:2112            // storeRemap lr
	;; [unrolled: 1-line block ×7, first 2 shown]

s_waitcnt lgkmcnt(7)                               // wait for LDS read
_v_add_u32 v11, v5, 0                              // coord1 += nColPerLoad
_v_add_u32 v10, v4, 0                              // coord0 += element index of load vector
_v_add_u32 v9, v6, 0                               // offset coord1 += nColPerLoad
v_cmp_lt_u32 s[56:57], v10, s[sgprSizeI]           // coord0 < size0
v_cmp_lt_u32 s[58:59], v11, s[sgprSizeJ]           // coord1 < size1
s_and_b64 s[58:59], s[56:57], s[58:59]             // in0 && in1
v_mul_lo_u32 v9, v9, s[sgprStrideD1J]              // coord1 element offset =  coord1 * StrideD
_v_add_lshl_u32 v9, v9, v10, 0x3                   // scale to BPE
v_cndmask_b32 v9, -1, v9, s[58:59]                 // clip if OOB. offset
_buffer_store_b64 v[12:13], v9, s[sgprSrdD:sgprSrdD+3], 0, offen, offset:0 // store D
_v_add_u32 v11, v5, 0                              // coord1 += nColPerLoad
_v_add_u32 v10, v4, 1                              // coord0 += element index of load vector
_v_add_u32 v9, v6, 0                               // offset coord1 += nColPerLoad
v_cmp_lt_u32 s[56:57], v10, s[sgprSizeI]           // coord0 < size0
v_cmp_lt_u32 s[58:59], v11, s[sgprSizeJ]           // coord1 < size1
s_and_b64 s[58:59], s[56:57], s[58:59]             // in0 && in1
v_mul_lo_u32 v9, v9, s[sgprStrideD1J]              // coord1 element offset =  coord1 * StrideD
_v_add_lshl_u32 v9, v9, v10, 0x3                   // scale to BPE
v_cndmask_b32 v9, -1, v9, s[58:59]                 // clip if OOB. offset
_buffer_store_b64 v[14:15], v9, s[sgprSrdD:sgprSrdD+3], 0, offen, offset:0 // store D
s_waitcnt lgkmcnt(6)                               // wait for LDS read
_v_add_u32 v11, v5, 1                              // coord1 += nColPerLoad
_v_add_u32 v10, v4, 0                              // coord0 += element index of load vector
_v_add_u32 v9, v6, 1                               // offset coord1 += nColPerLoad
v_cmp_lt_u32 s[56:57], v10, s[sgprSizeI]           // coord0 < size0
v_cmp_lt_u32 s[58:59], v11, s[sgprSizeJ]           // coord1 < size1
s_and_b64 s[58:59], s[56:57], s[58:59]             // in0 && in1
v_mul_lo_u32 v9, v9, s[sgprStrideD1J]              // coord1 element offset =  coord1 * StrideD
_v_add_lshl_u32 v9, v9, v10, 0x3                   // scale to BPE
v_cndmask_b32 v9, -1, v9, s[58:59]                 // clip if OOB. offset
_buffer_store_b64 v[16:17], v9, s[sgprSrdD:sgprSrdD+3], 0, offen, offset:0 // store D
_v_add_u32 v11, v5, 1                              // coord1 += nColPerLoad
_v_add_u32 v10, v4, 1                              // coord0 += element index of load vector
_v_add_u32 v9, v6, 1                               // offset coord1 += nColPerLoad
v_cmp_lt_u32 s[56:57], v10, s[sgprSizeI]           // coord0 < size0
v_cmp_lt_u32 s[58:59], v11, s[sgprSizeJ]           // coord1 < size1
s_and_b64 s[58:59], s[56:57], s[58:59]             // in0 && in1
v_mul_lo_u32 v9, v9, s[sgprStrideD1J]              // coord1 element offset =  coord1 * StrideD
_v_add_lshl_u32 v9, v9, v10, 0x3                   // scale to BPE
v_cndmask_b32 v9, -1, v9, s[58:59]                 // clip if OOB. offset
_buffer_store_b64 v[18:19], v9, s[sgprSrdD:sgprSrdD+3], 0, offen, offset:0 // store D
	;; [unrolled: 21-line block ×8, first 2 shown]

s_barrier //wait all lds read finished
s_nop 0                                            // 1 wait state required when next inst writes vgprs held by previous dwordx4 store inst
/* optSingleColVgpr=0 optSharedColVgpr=0 optSGPRUsage=BufferLoad_Edge_Mask optSrdIncForRow=1 */

/******************************************/
/* Global Write Alpha Beta Edge Batch #3 (d1,d0,vc1,vc0) = */
/*    (3,0,0,0:vw1); (3,0,0,1:vw1); (3,0,0,2:vw1); (3,0,0,3:vw1); (3,1,0,0:vw1); (3,1,0,1:vw1); (3,1,0,2:vw1); (3,1,0,3:vw1); (3,2,0,0:vw1); (3,2,0,1:vw1); (3,2,0,2:vw1); (3,2,0,3:vw1); (3,3,0,0:vw1); (3,3,0,1:vw1); (3,3,0,2:vw1); (3,3,0,3:vw1) */
/******************************************/

/* calc coords, apply mask, and issue loads (if necessary) */
/* (d1,vc1,d0,vc0)=(3,0,0,0) */
_v_add_co_u32 v1, vcc, v1, 32                      // coord1.1: coord1Vgpr += d1*sg1*VW + vc1
v_cmp_lt_u32 s[56:57], v0, s[sgprSizeI]            // coord0 < size0
v_cmp_lt_u32 s[60:61], v1, s[sgprSizeJ]            // coord1 < size1
s_and_b64 s[60:61], s[56:57], s[60:61]             // in0 && in1
_v_add_lshl_u32 v9, v2, v0, 0x3                    // scaleToBpe: accumulate d0 lower and *= bpe into Cin addr
v_cndmask_b32 v9, -1, v9, s[60:61]                 // LDC clip if OOB. offset
s_mul_i32 s56, s[sgprStrideC1J], 256               // scale StrideC *= numRows(32) * bpe
s_add_u32  s[sgprSrdC+0], s[sgprSrdC+0], s56       // incToNextRow: gra SRD += inc(lower)
s_addc_u32  s[sgprSrdC+1], s[sgprSrdC+1], 0        // incToNextRow: gra SRD += inc(upper)
_buffer_load_b64 v[12:13], v9, s[sgprSrdC:sgprSrdC+3], 0, offen offset:0 // load C for beta calc
_v_add_lshl_u32 v9, v3, v0, 0x3                    // scaleToBpe: accumulate d0 lower and *= bpe into Cin addr
v_cndmask_b32 v9, -1, v9, s[60:61]                 // LDD clip if OOB. offset
/* (d1,vc1,d0,vc0)=(3,0,0,1) */
_v_add_co_u32 v10, vcc, v0, 1                      // coord0.1: coord0 += d0*sg0*VW + vc0
v_cmp_lt_u32 s[56:57], v10, s[sgprSizeI]           // coord0 < size0
v_cmp_lt_u32 s[60:61], v1, s[sgprSizeJ]            // coord1 < size1
s_and_b64 s[60:61], s[56:57], s[60:61]             // in0 && in1
_v_add_lshl_u32 v16, v2, v10, 0x3                  // scaleToBpe: accumulate d0 lower and *= bpe into Cin addr
v_cndmask_b32 v16, -1, v16, s[60:61]               // LDC clip if OOB. offset
_buffer_load_b64 v[18:19], v16, s[sgprSrdC:sgprSrdC+3], 0, offen offset:0 // load C for beta calc
_v_add_lshl_u32 v16, v3, v10, 0x3                  // scaleToBpe: accumulate d0 lower and *= bpe into Cin addr
v_cndmask_b32 v16, -1, v16, s[60:61]               // LDD clip if OOB. offset
/* (d1,vc1,d0,vc0)=(3,0,0,2) */
_v_add_co_u32 v10, vcc, v0, 2                      // coord0.1: coord0 += d0*sg0*VW + vc0
v_cmp_lt_u32 s[56:57], v10, s[sgprSizeI]           // coord0 < size0
v_cmp_lt_u32 s[60:61], v1, s[sgprSizeJ]            // coord1 < size1
s_and_b64 s[60:61], s[56:57], s[60:61]             // in0 && in1
_v_add_lshl_u32 v17, v2, v10, 0x3                  // scaleToBpe: accumulate d0 lower and *= bpe into Cin addr
v_cndmask_b32 v17, -1, v17, s[60:61]               // LDC clip if OOB. offset
_buffer_load_b64 v[22:23], v17, s[sgprSrdC:sgprSrdC+3], 0, offen offset:0 // load C for beta calc
_v_add_lshl_u32 v17, v3, v10, 0x3                  // scaleToBpe: accumulate d0 lower and *= bpe into Cin addr
v_cndmask_b32 v17, -1, v17, s[60:61]               // LDD clip if OOB. offset
/* (d1,vc1,d0,vc0)=(3,0,0,3) */
_v_add_co_u32 v10, vcc, v0, 3                      // coord0.1: coord0 += d0*sg0*VW + vc0
v_cmp_lt_u32 s[56:57], v10, s[sgprSizeI]           // coord0 < size0
v_cmp_lt_u32 s[60:61], v1, s[sgprSizeJ]            // coord1 < size1
s_and_b64 s[60:61], s[56:57], s[60:61]             // in0 && in1
_v_add_lshl_u32 v26, v2, v10, 0x3                  // scaleToBpe: accumulate d0 lower and *= bpe into Cin addr
v_cndmask_b32 v26, -1, v26, s[60:61]               // LDC clip if OOB. offset
_buffer_load_b64 v[28:29], v26, s[sgprSrdC:sgprSrdC+3], 0, offen offset:0 // load C for beta calc
_v_add_lshl_u32 v26, v3, v10, 0x3                  // scaleToBpe: accumulate d0 lower and *= bpe into Cin addr
v_cndmask_b32 v26, -1, v26, s[60:61]               // LDD clip if OOB. offset
/* (d1,vc1,d0,vc0)=(3,0,1,0) */
_v_add_co_u32 v10, vcc, v0, 8                      // coord0.1: coord0 += d0*sg0*VW + vc0
v_cmp_lt_u32 s[56:57], v10, s[sgprSizeI]           // coord0 < size0
v_cmp_lt_u32 s[60:61], v1, s[sgprSizeJ]            // coord1 < size1
s_and_b64 s[60:61], s[56:57], s[60:61]             // in0 && in1
_v_add_lshl_u32 v27, v2, v10, 0x3                  // scaleToBpe: accumulate d0 lower and *= bpe into Cin addr
v_cndmask_b32 v27, -1, v27, s[60:61]               // LDC clip if OOB. offset
_buffer_load_b64 v[32:33], v27, s[sgprSrdC:sgprSrdC+3], 0, offen offset:0 // load C for beta calc
_v_add_lshl_u32 v27, v3, v10, 0x3                  // scaleToBpe: accumulate d0 lower and *= bpe into Cin addr
v_cndmask_b32 v27, -1, v27, s[60:61]               // LDD clip if OOB. offset
/* (d1,vc1,d0,vc0)=(3,0,1,1) */
_v_add_co_u32 v10, vcc, v0, 9                      // coord0.1: coord0 += d0*sg0*VW + vc0
v_cmp_lt_u32 s[56:57], v10, s[sgprSizeI]           // coord0 < size0
v_cmp_lt_u32 s[60:61], v1, s[sgprSizeJ]            // coord1 < size1
s_and_b64 s[60:61], s[56:57], s[60:61]             // in0 && in1
_v_add_lshl_u32 v36, v2, v10, 0x3                  // scaleToBpe: accumulate d0 lower and *= bpe into Cin addr
v_cndmask_b32 v36, -1, v36, s[60:61]               // LDC clip if OOB. offset
_buffer_load_b64 v[38:39], v36, s[sgprSrdC:sgprSrdC+3], 0, offen offset:0 // load C for beta calc
_v_add_lshl_u32 v36, v3, v10, 0x3                  // scaleToBpe: accumulate d0 lower and *= bpe into Cin addr
v_cndmask_b32 v36, -1, v36, s[60:61]               // LDD clip if OOB. offset
/* (d1,vc1,d0,vc0)=(3,0,1,2) */
_v_add_co_u32 v10, vcc, v0, 10                     // coord0.1: coord0 += d0*sg0*VW + vc0
v_cmp_lt_u32 s[56:57], v10, s[sgprSizeI]           // coord0 < size0
v_cmp_lt_u32 s[60:61], v1, s[sgprSizeJ]            // coord1 < size1
s_and_b64 s[60:61], s[56:57], s[60:61]             // in0 && in1
_v_add_lshl_u32 v37, v2, v10, 0x3                  // scaleToBpe: accumulate d0 lower and *= bpe into Cin addr
v_cndmask_b32 v37, -1, v37, s[60:61]               // LDC clip if OOB. offset
_buffer_load_b64 v[46:47], v37, s[sgprSrdC:sgprSrdC+3], 0, offen offset:0 // load C for beta calc
_v_add_lshl_u32 v37, v3, v10, 0x3                  // scaleToBpe: accumulate d0 lower and *= bpe into Cin addr
v_cndmask_b32 v37, -1, v37, s[60:61]               // LDD clip if OOB. offset
/* (d1,vc1,d0,vc0)=(3,0,1,3) */
_v_add_co_u32 v10, vcc, v0, 11                     // coord0.1: coord0 += d0*sg0*VW + vc0
v_cmp_lt_u32 s[56:57], v10, s[sgprSizeI]           // coord0 < size0
v_cmp_lt_u32 s[60:61], v1, s[sgprSizeJ]            // coord1 < size1
s_and_b64 s[60:61], s[56:57], s[60:61]             // in0 && in1
_v_add_lshl_u32 v43, v2, v10, 0x3                  // scaleToBpe: accumulate d0 lower and *= bpe into Cin addr
v_cndmask_b32 v43, -1, v43, s[60:61]               // LDC clip if OOB. offset
_buffer_load_b64 v[50:51], v43, s[sgprSrdC:sgprSrdC+3], 0, offen offset:0 // load C for beta calc
_v_add_lshl_u32 v43, v3, v10, 0x3                  // scaleToBpe: accumulate d0 lower and *= bpe into Cin addr
v_cndmask_b32 v43, -1, v43, s[60:61]               // LDD clip if OOB. offset
	;; [unrolled: 10-line block ×10, first 2 shown]
v_accvgpr_read_b32 v[vgprValuC+14], acc48 // copy acc to vreg[96]
v_accvgpr_read_b32 v[vgprValuC+15], acc112 // copy acc to vreg[97]
v_accvgpr_read_b32 v[vgprValuC+20], acc49 // copy acc to vreg[98]
v_accvgpr_read_b32 v[vgprValuC+21], acc113 // copy acc to vreg[99]
v_accvgpr_read_b32 v[vgprValuC+24], acc50 // copy acc to vreg[100]
v_accvgpr_read_b32 v[vgprValuC+25], acc114 // copy acc to vreg[101]
v_accvgpr_read_b32 v[vgprValuC+30], acc51 // copy acc to vreg[102]
v_accvgpr_read_b32 v[vgprValuC+31], acc115 // copy acc to vreg[103]
v_accvgpr_read_b32 v[vgprValuC+34], acc52 // copy acc to vreg[104]
v_accvgpr_read_b32 v[vgprValuC+35], acc116 // copy acc to vreg[105]
v_accvgpr_read_b32 v[vgprValuC+44], acc53 // copy acc to vreg[106]
v_accvgpr_read_b32 v[vgprValuC+45], acc117 // copy acc to vreg[107]
v_accvgpr_read_b32 v[vgprValuC+48], acc54 // copy acc to vreg[108]
v_accvgpr_read_b32 v[vgprValuC+49], acc118 // copy acc to vreg[109]
v_accvgpr_read_b32 v[vgprValuC+52], acc55 // copy acc to vreg[110]
v_accvgpr_read_b32 v[vgprValuC+53], acc119 // copy acc to vreg[111]
v_accvgpr_read_b32 v[vgprValuC+58], acc56 // copy acc to vreg[112]
v_accvgpr_read_b32 v[vgprValuC+59], acc120 // copy acc to vreg[113]
v_accvgpr_read_b32 v[vgprValuC+62], acc57 // copy acc to vreg[114]
v_accvgpr_read_b32 v[vgprValuC+63], acc121 // copy acc to vreg[115]
v_accvgpr_read_b32 v[vgprValuC+68], acc58 // copy acc to vreg[116]
v_accvgpr_read_b32 v[vgprValuC+69], acc122 // copy acc to vreg[117]
v_accvgpr_read_b32 v[vgprValuC+72], acc59 // copy acc to vreg[118]
v_accvgpr_read_b32 v[vgprValuC+73], acc123 // copy acc to vreg[119]
v_accvgpr_read_b32 v[vgprValuC+78], acc60 // copy acc to vreg[120]
v_accvgpr_read_b32 v[vgprValuC+79], acc124 // copy acc to vreg[121]
v_accvgpr_read_b32 v[vgprValuC+82], acc61 // copy acc to vreg[122]
v_accvgpr_read_b32 v[vgprValuC+83], acc125 // copy acc to vreg[123]
v_accvgpr_read_b32 v[vgprValuC+88], acc62 // copy acc to vreg[124]
v_accvgpr_read_b32 v[vgprValuC+89], acc126 // copy acc to vreg[125]
v_accvgpr_read_b32 v[vgprValuC+92], acc63 // copy acc to vreg[126]
v_accvgpr_read_b32 v[vgprValuC+93], acc127 // copy acc to vreg[127]
s_nop 1                                            // 2 wait states required before reading vgpr

/* rC *= alpha batchElements=[(3, 0, 0, 0), (3, 0, 0, 1), (3, 0, 0, 2), (3, 0, 0, 3), (3, 1, 0, 0), (3, 1, 0, 1), (3, 1, 0, 2), (3, 1, 0, 3), (3, 2, 0, 0), (3, 2, 0, 1), (3, 2, 0, 2), (3, 2, 0, 3), (3, 3, 0, 0), (3, 3, 0, 1), (3, 3, 0, 2), (3, 3, 0, 3)] */
v_mov_b32 v94, v[vgprValuC+14]                     // store Cr
v_mul_f32 v[vgprValuC+14], s[sgprAlpha], v[vgprValuC+14] // *= alpha ( Cr = Ar * Cr)
_v_mac_f32 v[vgprValuC+14], -s[sgprAlpha+1], v[vgprValuC+15] // *= alpha ( Cr += -Ai * Ci )
v_mul_f32 v[vgprValuC+15], s[sgprAlpha], v[vgprValuC+15] // *= alpha ( Ci = Ar * Ci)
_v_mac_f32 v[vgprValuC+15], s[sgprAlpha+1], v94    // *= alpha ( Ci += Ai * Cr_backup )
v_mov_b32 v94, v[vgprValuC+20]                     // store Cr
v_mul_f32 v[vgprValuC+20], s[sgprAlpha], v[vgprValuC+20] // *= alpha ( Cr = Ar * Cr)
_v_mac_f32 v[vgprValuC+20], -s[sgprAlpha+1], v[vgprValuC+21] // *= alpha ( Cr += -Ai * Ci )
v_mul_f32 v[vgprValuC+21], s[sgprAlpha], v[vgprValuC+21] // *= alpha ( Ci = Ar * Ci)
_v_mac_f32 v[vgprValuC+21], s[sgprAlpha+1], v94    // *= alpha ( Ci += Ai * Cr_backup )
	;; [unrolled: 5-line block ×16, first 2 shown]
s_waitcnt vmcnt(0)                                 // wait C

/* apply mask, calc new C and issue writes */

/* StoreRemap: shift coord1 address */
s_mul_i32 s56, s[sgprStrideD1J], 256               // scale StrideD *= numRows(32) * bpe
s_add_u32  s[sgprSrdD+0], s[sgprSrdD+0], s56       // incToNextRow: gra SRD += inc(lower)
s_addc_u32  s[sgprSrdD+1], s[sgprSrdD+1], 0        // incToNextRow: gra SRD += inc(upper)
v_mov_b32 v10, 32                                  // set shift rows
_v_add_u32 v5, v5, v10                             // shift storeRemap coord1
_v_mac_f32 v[vgprValuC+14], v12, s[sgprBeta]       // finalSum Cr += old Cr * Br
_v_mac_f32 v[vgprValuC+14], v13, -s[sgprBeta+1]    // finalSum Cr += old Ci * -Bi
_v_mac_f32 v[vgprValuC+15], v13, s[sgprBeta]       // finalSum Ci += old Ci * Br
_v_mac_f32 v[vgprValuC+15], v12, s[sgprBeta+1]     // finalSum Ci += old Cr * Bi
_ds_store_b64 v7, v[14:15], offset:0               // storeRemap lw
_v_mac_f32 v[vgprValuC+20], v18, s[sgprBeta]       // finalSum Cr += old Cr * Br
_v_mac_f32 v[vgprValuC+20], v19, -s[sgprBeta+1]    // finalSum Cr += old Ci * -Bi
_v_mac_f32 v[vgprValuC+21], v19, s[sgprBeta]       // finalSum Ci += old Ci * Br
_v_mac_f32 v[vgprValuC+21], v18, s[sgprBeta+1]     // finalSum Ci += old Cr * Bi
_ds_store_b64 v7, v[20:21], offset:8               // storeRemap lw
_v_mac_f32 v[vgprValuC+24], v22, s[sgprBeta]       // finalSum Cr += old Cr * Br
_v_mac_f32 v[vgprValuC+24], v23, -s[sgprBeta+1]    // finalSum Cr += old Ci * -Bi
_v_mac_f32 v[vgprValuC+25], v23, s[sgprBeta]       // finalSum Ci += old Ci * Br
_v_mac_f32 v[vgprValuC+25], v22, s[sgprBeta+1]     // finalSum Ci += old Cr * Bi
_ds_store_b64 v7, v[24:25], offset:16              // storeRemap lw
_v_mac_f32 v[vgprValuC+30], v28, s[sgprBeta]       // finalSum Cr += old Cr * Br
_v_mac_f32 v[vgprValuC+30], v29, -s[sgprBeta+1]    // finalSum Cr += old Ci * -Bi
_v_mac_f32 v[vgprValuC+31], v29, s[sgprBeta]       // finalSum Ci += old Ci * Br
_v_mac_f32 v[vgprValuC+31], v28, s[sgprBeta+1]     // finalSum Ci += old Cr * Bi
_ds_store_b64 v7, v[30:31], offset:24              // storeRemap lw
	;; [unrolled: 5-line block ×6, first 2 shown]
_v_mac_f32 v[vgprValuC+58], v56, s[sgprBeta]       // finalSum Cr += old Cr * Br
_v_mac_f32 v[vgprValuC+58], v57, -s[sgprBeta+1]    // finalSum Cr += old Ci * -Bi
_v_mac_f32 v[vgprValuC+59], v57, s[sgprBeta]       // finalSum Ci += old Ci * Br
_v_mac_f32 v[vgprValuC+59], v56, s[sgprBeta+1]     // finalSum Ci += old Cr * Bi
_ds_store_b64 v7, v[58:59], offset:128             // storeRemap lw
_v_mac_f32 v[vgprValuC+62], v60, s[sgprBeta]       // finalSum Cr += old Cr * Br
_v_mac_f32 v[vgprValuC+62], v61, -s[sgprBeta+1]    // finalSum Cr += old Ci * -Bi
_v_mac_f32 v[vgprValuC+63], v61, s[sgprBeta]       // finalSum Ci += old Ci * Br
_v_mac_f32 v[vgprValuC+63], v60, s[sgprBeta+1]     // finalSum Ci += old Cr * Bi
_ds_store_b64 v7, v[62:63], offset:136             // storeRemap lw
	;; [unrolled: 5-line block ×8, first 2 shown]

/* Handle local read and global write */
s_waitcnt lgkmcnt(0)                               // wait for LDS write
s_barrier //wait all lds write finished

_ds_load_b128 v[12:15], v8, offset:0               // storeRemap lr
_ds_load_b128 v[16:19], v8, offset:1056            // storeRemap lr
_ds_load_b128 v[20:23], v8, offset:2112            // storeRemap lr
	;; [unrolled: 1-line block ×7, first 2 shown]

s_waitcnt lgkmcnt(7)                               // wait for LDS read
_v_add_u32 v11, v5, 0                              // coord1 += nColPerLoad
_v_add_u32 v10, v4, 0                              // coord0 += element index of load vector
_v_add_u32 v9, v6, 0                               // offset coord1 += nColPerLoad
v_cmp_lt_u32 s[56:57], v10, s[sgprSizeI]           // coord0 < size0
v_cmp_lt_u32 s[58:59], v11, s[sgprSizeJ]           // coord1 < size1
s_and_b64 s[58:59], s[56:57], s[58:59]             // in0 && in1
v_mul_lo_u32 v9, v9, s[sgprStrideD1J]              // coord1 element offset =  coord1 * StrideD
_v_add_lshl_u32 v9, v9, v10, 0x3                   // scale to BPE
v_cndmask_b32 v9, -1, v9, s[58:59]                 // clip if OOB. offset
_buffer_store_b64 v[12:13], v9, s[sgprSrdD:sgprSrdD+3], 0, offen, offset:0 // store D
_v_add_u32 v11, v5, 0                              // coord1 += nColPerLoad
_v_add_u32 v10, v4, 1                              // coord0 += element index of load vector
_v_add_u32 v9, v6, 0                               // offset coord1 += nColPerLoad
v_cmp_lt_u32 s[56:57], v10, s[sgprSizeI]           // coord0 < size0
v_cmp_lt_u32 s[58:59], v11, s[sgprSizeJ]           // coord1 < size1
s_and_b64 s[58:59], s[56:57], s[58:59]             // in0 && in1
v_mul_lo_u32 v9, v9, s[sgprStrideD1J]              // coord1 element offset =  coord1 * StrideD
_v_add_lshl_u32 v9, v9, v10, 0x3                   // scale to BPE
v_cndmask_b32 v9, -1, v9, s[58:59]                 // clip if OOB. offset
_buffer_store_b64 v[14:15], v9, s[sgprSrdD:sgprSrdD+3], 0, offen, offset:0 // store D
s_waitcnt lgkmcnt(6)                               // wait for LDS read
_v_add_u32 v11, v5, 1                              // coord1 += nColPerLoad
_v_add_u32 v10, v4, 0                              // coord0 += element index of load vector
_v_add_u32 v9, v6, 1                               // offset coord1 += nColPerLoad
v_cmp_lt_u32 s[56:57], v10, s[sgprSizeI]           // coord0 < size0
v_cmp_lt_u32 s[58:59], v11, s[sgprSizeJ]           // coord1 < size1
s_and_b64 s[58:59], s[56:57], s[58:59]             // in0 && in1
v_mul_lo_u32 v9, v9, s[sgprStrideD1J]              // coord1 element offset =  coord1 * StrideD
_v_add_lshl_u32 v9, v9, v10, 0x3                   // scale to BPE
v_cndmask_b32 v9, -1, v9, s[58:59]                 // clip if OOB. offset
_buffer_store_b64 v[16:17], v9, s[sgprSrdD:sgprSrdD+3], 0, offen, offset:0 // store D
_v_add_u32 v11, v5, 1                              // coord1 += nColPerLoad
_v_add_u32 v10, v4, 1                              // coord0 += element index of load vector
_v_add_u32 v9, v6, 1                               // offset coord1 += nColPerLoad
v_cmp_lt_u32 s[56:57], v10, s[sgprSizeI]           // coord0 < size0
v_cmp_lt_u32 s[58:59], v11, s[sgprSizeJ]           // coord1 < size1
s_and_b64 s[58:59], s[56:57], s[58:59]             // in0 && in1
v_mul_lo_u32 v9, v9, s[sgprStrideD1J]              // coord1 element offset =  coord1 * StrideD
_v_add_lshl_u32 v9, v9, v10, 0x3                   // scale to BPE
v_cndmask_b32 v9, -1, v9, s[58:59]                 // clip if OOB. offset
_buffer_store_b64 v[18:19], v9, s[sgprSrdD:sgprSrdD+3], 0, offen, offset:0 // store D
	;; [unrolled: 21-line block ×8, first 2 shown]

s_barrier //wait all lds read finished
s_nop 0                                            // 1 wait state required when next inst writes vgprs held by previous dwordx4 store inst
s_branch label_GW_End_42                           // jump to end
label_GW_End_42:

label_0047:  /// KernelEnd
s_endpgm                                           // Kernel End

